;; amdgpu-corpus repo=ROCm/rocFFT kind=compiled arch=gfx1100 opt=O3
	.text
	.amdgcn_target "amdgcn-amd-amdhsa--gfx1100"
	.amdhsa_code_object_version 6
	.protected	bluestein_single_back_len2430_dim1_sp_op_CI_CI ; -- Begin function bluestein_single_back_len2430_dim1_sp_op_CI_CI
	.globl	bluestein_single_back_len2430_dim1_sp_op_CI_CI
	.p2align	8
	.type	bluestein_single_back_len2430_dim1_sp_op_CI_CI,@function
bluestein_single_back_len2430_dim1_sp_op_CI_CI: ; @bluestein_single_back_len2430_dim1_sp_op_CI_CI
; %bb.0:
	s_load_b128 s[16:19], s[0:1], 0x28
	v_mul_u32_u24_e32 v1, 0x32a, v0
	s_mov_b32 s2, exec_lo
	v_mov_b32_e32 v3, 0
	s_delay_alu instid0(VALU_DEP_2) | instskip(NEXT) | instid1(VALU_DEP_1)
	v_lshrrev_b32_e32 v1, 16, v1
	v_add_nc_u32_e32 v2, s15, v1
	s_waitcnt lgkmcnt(0)
	s_delay_alu instid0(VALU_DEP_1)
	v_cmpx_gt_u64_e64 s[16:17], v[2:3]
	s_cbranch_execz .LBB0_2
; %bb.1:
	s_clause 0x1
	s_load_b128 s[4:7], s[0:1], 0x18
	s_load_b128 s[8:11], s[0:1], 0x0
	v_mul_lo_u16 v1, 0x51, v1
	v_mov_b32_e32 v6, v2
	s_load_b64 s[0:1], s[0:1], 0x38
	s_delay_alu instid0(VALU_DEP_2)
	v_sub_nc_u16 v20, v0, v1
	scratch_store_b64 off, v[6:7], off      ; 8-byte Folded Spill
	v_and_b32_e32 v128, 0xffff, v20
	s_waitcnt lgkmcnt(0)
	s_load_b128 s[12:15], s[4:5], 0x0
	s_waitcnt lgkmcnt(0)
	v_mad_u64_u32 v[0:1], null, s14, v2, 0
	v_mad_u64_u32 v[2:3], null, s12, v128, 0
	s_mul_i32 s3, s13, 0x798
	s_mul_hi_u32 s4, s12, 0x798
	s_delay_alu instid0(SALU_CYCLE_1) | instskip(SKIP_1) | instid1(VALU_DEP_1)
	s_add_i32 s3, s4, s3
	s_mul_i32 s4, s13, 0xffffbe30
	v_mad_u64_u32 v[4:5], null, s15, v6, v[1:2]
	s_sub_i32 s4, s4, s12
	s_delay_alu instid0(VALU_DEP_1)
	v_mov_b32_e32 v1, v4
	v_mad_u64_u32 v[5:6], null, s13, v128, v[3:4]
	v_lshlrev_b32_e32 v48, 3, v128
	s_clause 0x2
	global_load_b64 v[49:50], v48, s[8:9]
	global_load_b64 v[31:32], v48, s[8:9] offset:1944
	global_load_b64 v[39:40], v48, s[8:9] offset:3888
	v_mov_b32_e32 v3, v5
	v_lshlrev_b64 v[0:1], 3, v[0:1]
	s_delay_alu instid0(VALU_DEP_2) | instskip(NEXT) | instid1(VALU_DEP_2)
	v_lshlrev_b64 v[2:3], 3, v[2:3]
	v_add_co_u32 v0, vcc_lo, s18, v0
	s_delay_alu instid0(VALU_DEP_3) | instskip(NEXT) | instid1(VALU_DEP_2)
	v_add_co_ci_u32_e32 v1, vcc_lo, s19, v1, vcc_lo
	v_add_co_u32 v2, vcc_lo, v0, v2
	s_delay_alu instid0(VALU_DEP_2) | instskip(SKIP_4) | instid1(VALU_DEP_1)
	v_add_co_ci_u32_e32 v3, vcc_lo, v1, v3, vcc_lo
	global_load_b64 v[6:7], v[2:3], off
	s_waitcnt vmcnt(0)
	v_mul_f32_e32 v27, v7, v50
	v_add_co_u32 v202, s2, s8, v48
	v_add_co_ci_u32_e64 v203, null, s9, 0, s2
	s_mul_i32 s2, s12, 0x798
	v_add_nc_u32_e32 v254, 0x800, v48
	v_add_co_u32 v4, vcc_lo, v2, s2
	v_add_co_ci_u32_e32 v5, vcc_lo, s3, v3, vcc_lo
	v_add_co_u32 v0, vcc_lo, 0x1000, v202
	v_add_co_ci_u32_e32 v1, vcc_lo, 0, v203, vcc_lo
	s_delay_alu instid0(VALU_DEP_4) | instskip(NEXT) | instid1(VALU_DEP_4)
	v_add_co_u32 v8, vcc_lo, v4, s2
	v_add_co_ci_u32_e32 v9, vcc_lo, s3, v5, vcc_lo
	s_clause 0x1
	global_load_b64 v[4:5], v[4:5], off
	global_load_b64 v[2:3], v[8:9], off
	v_add_co_u32 v10, vcc_lo, v8, s2
	v_add_co_ci_u32_e32 v11, vcc_lo, s3, v9, vcc_lo
	v_mul_f32_e32 v28, v6, v50
	s_delay_alu instid0(VALU_DEP_3) | instskip(NEXT) | instid1(VALU_DEP_3)
	v_add_co_u32 v8, vcc_lo, v10, s2
	v_add_co_ci_u32_e32 v9, vcc_lo, s3, v11, vcc_lo
	v_add_co_u32 v12, vcc_lo, 0x2000, v202
	s_clause 0x1
	global_load_b64 v[37:38], v[0:1], off offset:1736
	global_load_b64 v[45:46], v[0:1], off offset:3680
	s_clause 0x1
	global_load_b64 v[10:11], v[10:11], off
	global_load_b64 v[14:15], v[8:9], off
	v_add_co_ci_u32_e32 v13, vcc_lo, 0, v203, vcc_lo
	v_add_co_u32 v8, vcc_lo, v8, s2
	v_add_co_ci_u32_e32 v9, vcc_lo, s3, v9, vcc_lo
	global_load_b64 v[35:36], v[12:13], off offset:1528
	v_add_co_u32 v16, vcc_lo, v8, s2
	v_add_co_ci_u32_e32 v17, vcc_lo, s3, v9, vcc_lo
	global_load_b64 v[8:9], v[8:9], off
	v_add_co_u32 v18, vcc_lo, 0x3000, v202
	global_load_b64 v[43:44], v[12:13], off offset:3472
	global_load_b64 v[21:22], v[16:17], off
	v_add_co_ci_u32_e32 v19, vcc_lo, 0, v203, vcc_lo
	v_add_co_u32 v16, vcc_lo, v16, s2
	v_add_co_ci_u32_e32 v17, vcc_lo, s3, v17, vcc_lo
	global_load_b64 v[33:34], v[18:19], off offset:1320
	global_load_b64 v[23:24], v[16:17], off
	v_add_co_u32 v16, vcc_lo, v16, s2
	v_add_co_ci_u32_e32 v17, vcc_lo, s3, v17, vcc_lo
	global_load_b64 v[51:52], v[18:19], off offset:3264
	global_load_b64 v[25:26], v[16:17], off
	s_clause 0x4
	global_load_b64 v[65:66], v48, s[8:9] offset:648
	global_load_b64 v[41:42], v48, s[8:9] offset:3240
	;; [unrolled: 1-line block ×3, first 2 shown]
	global_load_b64 v[53:54], v[0:1], off offset:2384
	global_load_b64 v[57:58], v[0:1], off offset:1088
	s_clause 0x2
	scratch_store_b64 off, v[49:50], off offset:240
	scratch_store_b64 off, v[39:40], off offset:200
	;; [unrolled: 1-line block ×3, first 2 shown]
	s_clause 0x1
	global_load_b64 v[59:60], v[0:1], off offset:3032
	global_load_b64 v[55:56], v[12:13], off offset:2176
	v_add_co_u32 v16, vcc_lo, v16, s2
	v_add_co_ci_u32_e32 v17, vcc_lo, s3, v17, vcc_lo
	v_add_co_u32 v200, vcc_lo, 0x4000, v202
	v_add_co_ci_u32_e32 v201, vcc_lo, 0, v203, vcc_lo
	v_add_nc_u32_e32 v248, 0x3000, v48
	v_dual_fmac_f32 v27, v6, v49 :: v_dual_add_nc_u32 v252, 0x4000, v48
	s_waitcnt vmcnt(20)
	v_mul_f32_e32 v30, v4, v32
	v_mul_f32_e32 v29, v5, v32
	s_waitcnt vmcnt(19)
	v_mul_f32_e32 v6, v3, v40
	v_fma_f32 v28, v7, v49, -v28
	v_fma_f32 v30, v5, v31, -v30
	v_fmac_f32_e32 v29, v4, v31
	v_mul_f32_e32 v5, v2, v40
	v_fmac_f32_e32 v6, v2, v39
	s_waitcnt vmcnt(18)
	scratch_store_b64 off, v[37:38], off offset:56 ; 8-byte Folded Spill
	s_waitcnt vmcnt(17)
	scratch_store_b64 off, v[45:46], off offset:192 ; 8-byte Folded Spill
	s_waitcnt vmcnt(16)
	v_mul_f32_e32 v4, v10, v38
	v_mul_f32_e32 v2, v11, v38
	v_fma_f32 v7, v3, v39, -v5
	s_waitcnt vmcnt(15)
	v_mul_f32_e32 v5, v14, v46
	ds_store_b64 v48, v[29:30] offset:1944
	v_fma_f32 v3, v11, v37, -v4
	v_mul_f32_e32 v4, v15, v46
	v_fmac_f32_e32 v2, v10, v37
	s_waitcnt vmcnt(14)
	scratch_store_b64 off, v[35:36], off offset:24 ; 8-byte Folded Spill
	ds_store_b64 v48, v[6:7] offset:3888
	v_fmac_f32_e32 v4, v14, v45
	s_waitcnt vmcnt(13)
	v_mul_f32_e32 v10, v8, v36
	v_fma_f32 v5, v15, v45, -v5
	s_clause 0x1
	global_load_b64 v[45:46], v[12:13], off offset:2824
	global_load_b64 v[61:62], v[12:13], off offset:880
	ds_store_b64 v48, v[2:3] offset:5832
	ds_store_b64 v48, v[4:5] offset:7776
	s_waitcnt vmcnt(14)
	v_dual_mov_b32 v4, v43 :: v_dual_mov_b32 v5, v44
	v_mul_f32_e32 v6, v9, v36
	s_clause 0x1
	global_load_b64 v[43:44], v[18:19], off offset:1968
	global_load_b64 v[49:50], v[18:19], off offset:672
	s_waitcnt vmcnt(14)
	scratch_store_b64 off, v[33:34], off offset:16 ; 8-byte Folded Spill
	v_mul_f32_e32 v3, v21, v5
	v_mul_f32_e32 v2, v22, v5
	scratch_store_b64 off, v[4:5], off offset:168 ; 8-byte Folded Spill
	s_clause 0x1
	global_load_b64 v[67:68], v[18:19], off offset:3912
	global_load_b64 v[36:37], v[18:19], off offset:2616
	s_waitcnt vmcnt(14)
	scratch_store_b64 off, v[51:52], off offset:160 ; 8-byte Folded Spill
	v_fma_f32 v7, v9, v35, -v10
	v_fma_f32 v3, v22, v4, -v3
	v_fmac_f32_e32 v2, v21, v4
	global_load_b64 v[10:11], v[16:17], off
	global_load_b64 v[21:22], v[200:201], off offset:1112
	v_mul_f32_e32 v5, v23, v34
	v_mul_f32_e32 v4, v24, v34
	v_fmac_f32_e32 v6, v8, v35
	s_waitcnt vmcnt(15)
	v_mul_f32_e32 v8, v25, v52
	v_fma_f32 v5, v24, v33, -v5
	v_fmac_f32_e32 v4, v23, v33
	s_delay_alu instid0(VALU_DEP_3) | instskip(SKIP_1) | instid1(VALU_DEP_1)
	v_fma_f32 v9, v26, v51, -v8
	v_mul_f32_e32 v8, v26, v52
	v_fmac_f32_e32 v8, v25, v51
	s_waitcnt vmcnt(0)
	v_mul_f32_e32 v14, v10, v22
	scratch_store_b64 off, v[21:22], off offset:8 ; 8-byte Folded Spill
	s_clause 0x2
	global_load_b64 v[34:35], v[200:201], off offset:1760
	global_load_b64 v[32:33], v[200:201], off offset:2408
	;; [unrolled: 1-line block ×3, first 2 shown]
	scratch_store_b64 off, v[65:66], off offset:224 ; 8-byte Folded Spill
	v_fma_f32 v15, v11, v21, -v14
	v_mul_f32_e32 v14, v11, v22
	s_delay_alu instid0(VALU_DEP_1) | instskip(SKIP_1) | instid1(VALU_DEP_1)
	v_fmac_f32_e32 v14, v10, v21
	v_mad_u64_u32 v[10:11], null, 0xffffbe30, s12, v[16:17]
	v_add_nc_u32_e32 v11, s4, v11
	global_load_b64 v[16:17], v[10:11], off
	s_waitcnt vmcnt(0)
	v_mul_f32_e32 v21, v16, v66
	s_delay_alu instid0(VALU_DEP_1) | instskip(SKIP_1) | instid1(VALU_DEP_1)
	v_fma_f32 v22, v17, v65, -v21
	v_mul_f32_e32 v21, v17, v66
	v_fmac_f32_e32 v21, v16, v65
	ds_store_b64 v48, v[6:7] offset:9720
	ds_store_b64 v48, v[2:3] offset:11664
	;; [unrolled: 1-line block ×5, first 2 shown]
	ds_store_2addr_b64 v48, v[27:28], v[21:22] offset1:81
	v_add_co_u32 v2, vcc_lo, v10, s2
	v_add_co_ci_u32_e32 v3, vcc_lo, s3, v11, vcc_lo
	s_delay_alu instid0(VALU_DEP_2) | instskip(NEXT) | instid1(VALU_DEP_2)
	v_add_co_u32 v4, vcc_lo, v2, s2
	v_add_co_ci_u32_e32 v5, vcc_lo, s3, v3, vcc_lo
	global_load_b64 v[2:3], v[2:3], off
	global_load_b64 v[8:9], v48, s[8:9] offset:2592
	s_clause 0xe
	scratch_store_b64 off, v[59:60], off offset:104
	scratch_store_b64 off, v[61:62], off offset:112
	scratch_store_b64 off, v[55:56], off offset:120
	scratch_store_b64 off, v[41:42], off offset:136
	scratch_store_b64 off, v[57:58], off offset:144
	scratch_store_b64 off, v[63:64], off offset:176
	scratch_store_b64 off, v[43:44], off offset:72
	scratch_store_b64 off, v[36:37], off offset:80
	scratch_store_b64 off, v[53:54], off offset:96
	scratch_store_b64 off, v[45:46], off offset:88
	scratch_store_b64 off, v[67:68], off offset:184
	scratch_store_b64 off, v[38:39], off offset:32
	scratch_store_b64 off, v[34:35], off offset:40
	scratch_store_b64 off, v[32:33], off offset:48
	scratch_store_b64 off, v[49:50], off offset:64
	s_waitcnt vmcnt(0)
	v_mul_f32_e32 v6, v2, v9
	scratch_store_b64 off, v[8:9], off offset:128 ; 8-byte Folded Spill
	v_fma_f32 v7, v3, v8, -v6
	v_mul_f32_e32 v6, v3, v9
	s_delay_alu instid0(VALU_DEP_1) | instskip(SKIP_2) | instid1(VALU_DEP_2)
	v_fmac_f32_e32 v6, v2, v8
	v_add_co_u32 v2, vcc_lo, v4, s2
	v_add_co_ci_u32_e32 v3, vcc_lo, s3, v5, vcc_lo
	v_add_co_u32 v8, vcc_lo, v2, s2
	s_delay_alu instid0(VALU_DEP_2) | instskip(SKIP_3) | instid1(VALU_DEP_2)
	v_add_co_ci_u32_e32 v9, vcc_lo, s3, v3, vcc_lo
	global_load_b64 v[2:3], v[2:3], off
	v_add_co_u32 v10, vcc_lo, v8, s2
	v_add_co_ci_u32_e32 v11, vcc_lo, s3, v9, vcc_lo
	v_add_co_u32 v14, vcc_lo, v10, s2
	s_delay_alu instid0(VALU_DEP_2) | instskip(NEXT) | instid1(VALU_DEP_2)
	v_add_co_ci_u32_e32 v15, vcc_lo, s3, v11, vcc_lo
	v_add_co_u32 v16, vcc_lo, v14, s2
	s_delay_alu instid0(VALU_DEP_2) | instskip(NEXT) | instid1(VALU_DEP_2)
	;; [unrolled: 3-line block ×3, first 2 shown]
	v_add_co_ci_u32_e32 v22, vcc_lo, s3, v17, vcc_lo
	v_add_co_u32 v23, vcc_lo, v21, s2
	s_delay_alu instid0(VALU_DEP_2) | instskip(NEXT) | instid1(VALU_DEP_1)
	v_add_co_ci_u32_e32 v24, vcc_lo, s3, v22, vcc_lo
	v_mad_u64_u32 v[25:26], null, 0xffffbe30, s12, v[23:24]
	s_delay_alu instid0(VALU_DEP_1) | instskip(NEXT) | instid1(VALU_DEP_2)
	v_add_nc_u32_e32 v26, s4, v26
	v_add_co_u32 v27, vcc_lo, v25, s2
	s_load_b128 s[4:7], s[6:7], 0x0
	s_delay_alu instid0(VALU_DEP_2) | instskip(SKIP_3) | instid1(VALU_DEP_1)
	v_add_co_ci_u32_e32 v28, vcc_lo, s3, v26, vcc_lo
	global_load_b64 v[29:30], v[27:28], off
	s_waitcnt vmcnt(0)
	v_mul_f32_e32 v31, v29, v42
	v_fma_f32 v31, v30, v41, -v31
	v_mul_f32_e32 v30, v30, v42
	s_delay_alu instid0(VALU_DEP_1)
	v_fmac_f32_e32 v30, v29, v41
	ds_store_2addr_b64 v254, v[6:7], v[30:31] offset0:68 offset1:149
	v_add_co_u32 v6, vcc_lo, v27, s2
	v_add_co_ci_u32_e32 v7, vcc_lo, s3, v28, vcc_lo
	global_load_b64 v[27:28], v[0:1], off offset:440
	global_load_b64 v[0:1], v[4:5], off
	s_waitcnt vmcnt(1)
	scratch_store_b64 off, v[27:28], off offset:232 ; 8-byte Folded Spill
	s_waitcnt vmcnt(0)
	v_mul_f32_e32 v4, v0, v28
	s_delay_alu instid0(VALU_DEP_1) | instskip(SKIP_1) | instid1(VALU_DEP_1)
	v_fma_f32 v5, v1, v27, -v4
	v_mul_f32_e32 v4, v1, v28
	v_fmac_f32_e32 v4, v0, v27
	global_load_b64 v[0:1], v[6:7], off
	s_waitcnt vmcnt(0)
	v_mul_f32_e32 v27, v0, v58
	s_delay_alu instid0(VALU_DEP_1) | instskip(SKIP_1) | instid1(VALU_DEP_1)
	v_fma_f32 v28, v1, v57, -v27
	v_mul_f32_e32 v27, v1, v58
	v_dual_fmac_f32 v27, v0, v57 :: v_dual_add_nc_u32 v0, 0x1000, v48
	ds_store_2addr_b64 v0, v[4:5], v[27:28] offset0:55 offset1:136
	v_mov_b32_e32 v220, v0
	v_add_co_u32 v0, vcc_lo, v6, s2
	v_add_co_ci_u32_e32 v1, vcc_lo, s3, v7, vcc_lo
	v_mul_f32_e32 v4, v2, v54
	global_load_b64 v[5:6], v[0:1], off
	v_add_co_u32 v0, vcc_lo, v0, s2
	v_fma_f32 v4, v3, v53, -v4
	v_mul_f32_e32 v3, v3, v54
	v_add_co_ci_u32_e32 v1, vcc_lo, s3, v1, vcc_lo
	s_waitcnt vmcnt(0)
	s_delay_alu instid0(VALU_DEP_2) | instskip(NEXT) | instid1(VALU_DEP_1)
	v_dual_fmac_f32 v3, v2, v53 :: v_dual_mul_f32 v2, v5, v60
	v_fma_f32 v7, v6, v59, -v2
	v_mul_f32_e32 v6, v6, v60
	v_add_nc_u32_e32 v2, 0x1800, v48
	s_delay_alu instid0(VALU_DEP_1)
	v_dual_fmac_f32 v6, v5, v59 :: v_dual_mov_b32 v249, v2
	ds_store_2addr_b64 v2, v[3:4], v[6:7] offset0:42 offset1:123
	global_load_b64 v[5:6], v[12:13], off offset:232
	v_add_nc_u32_e32 v13, 0x1c00, v48
	global_load_b64 v[2:3], v[8:9], off
	v_dual_mov_b32 v253, v13 :: v_dual_add_nc_u32 v8, 0xc00, v48
	s_delay_alu instid0(VALU_DEP_1) | instskip(SKIP_4) | instid1(VALU_DEP_1)
	v_mov_b32_e32 v232, v8
	s_waitcnt vmcnt(1)
	scratch_store_b64 off, v[5:6], off offset:216 ; 8-byte Folded Spill
	s_waitcnt vmcnt(0)
	v_mul_f32_e32 v4, v2, v6
	v_fma_f32 v4, v3, v5, -v4
	v_mul_f32_e32 v3, v3, v6
	s_delay_alu instid0(VALU_DEP_1)
	v_fmac_f32_e32 v3, v2, v5
	global_load_b64 v[5:6], v[0:1], off
	v_add_co_u32 v0, vcc_lo, v0, s2
	v_add_co_ci_u32_e32 v1, vcc_lo, s3, v1, vcc_lo
	s_waitcnt vmcnt(0)
	v_mul_f32_e32 v2, v5, v62
	s_delay_alu instid0(VALU_DEP_1) | instskip(SKIP_2) | instid1(VALU_DEP_2)
	v_fma_f32 v7, v6, v61, -v2
	v_mul_f32_e32 v6, v6, v62
	v_add_nc_u32_e32 v2, 0x2000, v48
	v_fmac_f32_e32 v6, v5, v61
	s_delay_alu instid0(VALU_DEP_2)
	v_mov_b32_e32 v250, v2
	ds_store_2addr_b64 v2, v[3:4], v[6:7] offset0:29 offset1:110
	global_load_b64 v[2:3], v[10:11], off
	global_load_b64 v[5:6], v[0:1], off
	v_add_co_u32 v0, vcc_lo, v0, s2
	v_add_co_ci_u32_e32 v1, vcc_lo, s3, v1, vcc_lo
	s_waitcnt vmcnt(1)
	v_mul_f32_e32 v4, v2, v56
	s_delay_alu instid0(VALU_DEP_1) | instskip(SKIP_2) | instid1(VALU_DEP_1)
	v_fma_f32 v4, v3, v55, -v4
	v_mul_f32_e32 v3, v3, v56
	s_waitcnt vmcnt(0)
	v_dual_fmac_f32 v3, v2, v55 :: v_dual_mul_f32 v2, v5, v46
	s_delay_alu instid0(VALU_DEP_1) | instskip(SKIP_2) | instid1(VALU_DEP_1)
	v_fma_f32 v7, v6, v45, -v2
	v_mul_f32_e32 v6, v6, v46
	v_add_nc_u32_e32 v2, 0x2800, v48
	v_dual_fmac_f32 v6, v5, v45 :: v_dual_mov_b32 v251, v2
	ds_store_2addr_b64 v2, v[3:4], v[6:7] offset0:16 offset1:97
	global_load_b64 v[5:6], v[18:19], off offset:24
	global_load_b64 v[2:3], v[14:15], off
	s_waitcnt vmcnt(1)
	scratch_store_b64 off, v[5:6], off offset:208 ; 8-byte Folded Spill
	s_waitcnt vmcnt(0)
	v_mul_f32_e32 v4, v2, v6
	s_delay_alu instid0(VALU_DEP_1) | instskip(SKIP_1) | instid1(VALU_DEP_1)
	v_fma_f32 v4, v3, v5, -v4
	v_mul_f32_e32 v3, v3, v6
	v_fmac_f32_e32 v3, v2, v5
	global_load_b64 v[5:6], v[0:1], off
	v_add_co_u32 v0, vcc_lo, v0, s2
	v_add_co_ci_u32_e32 v1, vcc_lo, s3, v1, vcc_lo
	s_waitcnt vmcnt(0)
	v_mul_f32_e32 v2, v5, v50
	s_delay_alu instid0(VALU_DEP_1) | instskip(SKIP_1) | instid1(VALU_DEP_1)
	v_fma_f32 v7, v6, v49, -v2
	v_mul_f32_e32 v6, v6, v50
	v_fmac_f32_e32 v6, v5, v49
	ds_store_2addr_b64 v248, v[3:4], v[6:7] offset0:3 offset1:84
	global_load_b64 v[2:3], v[16:17], off
	global_load_b64 v[5:6], v[0:1], off
	v_add_co_u32 v0, vcc_lo, v0, s2
	v_add_co_ci_u32_e32 v1, vcc_lo, s3, v1, vcc_lo
	v_add_nc_u32_e32 v16, 0x3800, v48
	s_waitcnt vmcnt(1)
	s_delay_alu instid0(VALU_DEP_1) | instskip(NEXT) | instid1(VALU_DEP_1)
	v_dual_mov_b32 v233, v16 :: v_dual_mul_f32 v4, v2, v44
	v_fma_f32 v4, v3, v43, -v4
	v_mul_f32_e32 v3, v3, v44
	s_waitcnt vmcnt(0)
	s_delay_alu instid0(VALU_DEP_1) | instskip(NEXT) | instid1(VALU_DEP_1)
	v_dual_fmac_f32 v3, v2, v43 :: v_dual_mul_f32 v2, v5, v37
	v_fma_f32 v7, v6, v36, -v2
	v_mul_f32_e32 v6, v6, v37
	v_add_nc_u32_e32 v2, 0x3400, v48
	s_delay_alu instid0(VALU_DEP_2) | instskip(NEXT) | instid1(VALU_DEP_2)
	v_fmac_f32_e32 v6, v5, v36
	v_mov_b32_e32 v144, v2
	ds_store_2addr_b64 v2, v[3:4], v[6:7] offset0:118 offset1:199
	global_load_b64 v[2:3], v[21:22], off
	global_load_b64 v[5:6], v[0:1], off
	v_add_co_u32 v0, vcc_lo, v0, s2
	v_add_co_ci_u32_e32 v1, vcc_lo, s3, v1, vcc_lo
	v_cmp_gt_u16_e32 vcc_lo, 9, v20
	global_load_b64 v[0:1], v[0:1], off
	s_waitcnt vmcnt(2)
	v_mul_f32_e32 v4, v2, v68
	s_delay_alu instid0(VALU_DEP_1) | instskip(SKIP_1) | instid1(VALU_DEP_1)
	v_fma_f32 v4, v3, v67, -v4
	v_mul_f32_e32 v3, v3, v68
	v_fmac_f32_e32 v3, v2, v67
	s_waitcnt vmcnt(1)
	v_mul_f32_e32 v2, v5, v39
	s_delay_alu instid0(VALU_DEP_1) | instskip(SKIP_2) | instid1(VALU_DEP_2)
	v_fma_f32 v7, v6, v38, -v2
	v_mul_f32_e32 v6, v6, v39
	v_add_nc_u32_e32 v2, 0x3c00, v48
	v_fmac_f32_e32 v6, v5, v38
	ds_store_2addr_b64 v2, v[3:4], v[6:7] offset0:105 offset1:186
	global_load_b64 v[2:3], v[23:24], off
	s_waitcnt vmcnt(0)
	v_mul_f32_e32 v4, v2, v35
	s_delay_alu instid0(VALU_DEP_1) | instskip(SKIP_1) | instid1(VALU_DEP_1)
	v_fma_f32 v4, v3, v34, -v4
	v_mul_f32_e32 v3, v3, v35
	v_dual_fmac_f32 v3, v2, v34 :: v_dual_mul_f32 v2, v0, v33
	s_delay_alu instid0(VALU_DEP_1) | instskip(SKIP_1) | instid1(VALU_DEP_1)
	v_fma_f32 v2, v1, v32, -v2
	v_mul_f32_e32 v1, v1, v33
	v_fmac_f32_e32 v1, v0, v32
	v_add_nc_u32_e32 v0, 0x4400, v48
	ds_store_2addr_b64 v0, v[3:4], v[1:2] offset0:92 offset1:173
	v_mov_b32_e32 v129, v0
	global_load_b64 v[0:1], v[25:26], off
	s_waitcnt vmcnt(0)
	v_mul_f32_e32 v2, v0, v64
	s_delay_alu instid0(VALU_DEP_1) | instskip(SKIP_1) | instid1(VALU_DEP_1)
	v_fma_f32 v2, v1, v63, -v2
	v_mul_f32_e32 v1, v1, v64
	v_fmac_f32_e32 v1, v0, v63
	ds_store_b64 v48, v[1:2] offset:1296
	s_waitcnt lgkmcnt(0)
	s_waitcnt_vscnt null, 0x0
	s_barrier
	buffer_gl0_inv
	ds_load_2addr_b64 v[0:3], v48 offset1:81
	ds_load_2addr_b64 v[4:7], v8 offset0:102 offset1:183
	ds_load_2addr_b64 v[8:11], v13 offset0:76 offset1:157
	s_waitcnt lgkmcnt(1)
	v_add_f32_e32 v12, v0, v4
	s_waitcnt lgkmcnt(0)
	v_sub_f32_e32 v94, v4, v8
	v_dual_sub_f32 v84, v8, v4 :: v_dual_sub_f32 v95, v5, v9
	s_delay_alu instid0(VALU_DEP_3) | instskip(SKIP_4) | instid1(VALU_DEP_4)
	v_dual_sub_f32 v85, v9, v5 :: v_dual_add_f32 v14, v12, v8
	v_dual_add_f32 v12, v1, v5 :: v_dual_sub_f32 v63, v6, v10
	v_sub_f32_e32 v68, v10, v6
	v_sub_f32_e32 v64, v7, v11
	;; [unrolled: 1-line block ×3, first 2 shown]
	v_add_f32_e32 v18, v12, v9
	v_add_f32_e32 v12, v2, v6
	s_delay_alu instid0(VALU_DEP_1) | instskip(NEXT) | instid1(VALU_DEP_1)
	v_dual_add_f32 v19, v12, v10 :: v_dual_add_f32 v12, v3, v7
	v_dual_add_f32 v25, v12, v11 :: v_dual_add_nc_u32 v12, 0x2c00, v48
	ds_load_2addr_b64 v[21:24], v12 offset0:50 offset1:131
	v_mov_b32_e32 v255, v12
	s_waitcnt lgkmcnt(0)
	v_dual_add_f32 v78, v8, v21 :: v_dual_sub_f32 v65, v9, v22
	v_dual_add_f32 v79, v9, v22 :: v_dual_sub_f32 v66, v8, v21
	;; [unrolled: 1-line block ×3, first 2 shown]
	v_add_f32_e32 v69, v11, v24
	v_sub_f32_e32 v13, v10, v23
	ds_load_2addr_b64 v[8:11], v16 offset0:152 offset1:233
	s_waitcnt lgkmcnt(0)
	v_sub_f32_e32 v67, v5, v9
	v_add_f32_e32 v87, v4, v8
	v_sub_f32_e32 v70, v4, v8
	v_add_f32_e32 v86, v5, v9
	v_dual_sub_f32 v16, v7, v11 :: v_dual_add_f32 v73, v6, v10
	v_dual_sub_f32 v17, v6, v10 :: v_dual_add_f32 v74, v7, v11
	v_add_f32_e32 v4, v14, v21
	v_dual_add_f32 v5, v18, v22 :: v_dual_add_f32 v6, v19, v23
	v_dual_add_f32 v7, v25, v24 :: v_dual_sub_f32 v96, v8, v21
	v_sub_f32_e32 v88, v21, v8
	v_sub_f32_e32 v97, v9, v22
	;; [unrolled: 1-line block ×3, first 2 shown]
	v_dual_sub_f32 v71, v10, v23 :: v_dual_sub_f32 v76, v23, v10
	v_sub_f32_e32 v77, v11, v24
	v_sub_f32_e32 v75, v24, v11
	v_dual_add_f32 v82, v4, v8 :: v_dual_add_f32 v83, v5, v9
	v_add_f32_e32 v18, v6, v10
	v_add_f32_e32 v14, v7, v11
	ds_load_2addr_b64 v[4:7], v48 offset0:162 offset1:243
	ds_load_2addr_b64 v[8:11], v220 offset0:136 offset1:217
	;; [unrolled: 1-line block ×4, first 2 shown]
	v_add_f32_e32 v85, v85, v89
	v_add_f32_e32 v95, v95, v97
	;; [unrolled: 1-line block ×3, first 2 shown]
	s_waitcnt lgkmcnt(1)
	v_dual_add_f32 v19, v6, v10 :: v_dual_sub_f32 v80, v11, v43
	s_waitcnt lgkmcnt(0)
	v_sub_f32_e32 v98, v10, v29
	v_add_f32_e32 v91, v10, v42
	v_sub_f32_e32 v92, v29, v10
	v_dual_add_f32 v26, v7, v11 :: v_dual_sub_f32 v81, v10, v42
	v_sub_f32_e32 v99, v11, v30
	v_add_f32_e32 v90, v11, v43
	v_dual_sub_f32 v93, v30, v11 :: v_dual_add_f32 v10, v4, v8
	v_add_f32_e32 v11, v5, v9
	v_dual_sub_f32 v21, v9, v41 :: v_dual_sub_f32 v24, v8, v27
	v_add_f32_e32 v23, v8, v40
	v_sub_f32_e32 v25, v27, v8
	v_dual_sub_f32 v22, v8, v40 :: v_dual_add_f32 v31, v9, v41
	v_dual_sub_f32 v33, v9, v28 :: v_dual_sub_f32 v32, v28, v9
	v_dual_add_f32 v36, v10, v27 :: v_dual_add_f32 v37, v11, v28
	ds_load_2addr_b64 v[8:11], v248 offset0:84 offset1:165
	v_add_f32_e32 v19, v19, v29
	v_add_f32_e32 v35, v26, v30
	v_fma_f32 v23, -0.5, v23, v4
	s_waitcnt lgkmcnt(0)
	s_delay_alu instid0(VALU_DEP_3)
	v_add_f32_e32 v19, v19, v10
	v_sub_f32_e32 v110, v43, v11
	v_dual_sub_f32 v26, v28, v9 :: v_dual_sub_f32 v111, v11, v43
	v_add_f32_e32 v34, v28, v9
	v_add_f32_e32 v28, v35, v11
	v_dual_add_f32 v104, v29, v10 :: v_dual_sub_f32 v105, v30, v11
	v_dual_add_f32 v106, v30, v11 :: v_dual_sub_f32 v107, v29, v10
	v_add_f32_e32 v30, v27, v8
	v_sub_f32_e32 v27, v27, v8
	v_add_f32_e32 v29, v36, v8
	v_dual_add_f32 v37, v37, v9 :: v_dual_sub_f32 v108, v42, v10
	v_dual_sub_f32 v109, v10, v42 :: v_dual_sub_f32 v38, v40, v8
	v_dual_sub_f32 v36, v8, v40 :: v_dual_sub_f32 v39, v41, v9
	v_dual_sub_f32 v35, v9, v41 :: v_dual_add_f32 v112, v19, v42
	v_add_f32_e32 v113, v28, v43
	ds_load_2addr_b64 v[8:11], v254 offset0:68 offset1:149
	ds_load_2addr_b64 v[42:45], v249 offset0:42 offset1:123
	;; [unrolled: 1-line block ×5, first 2 shown]
	v_add_f32_e32 v89, v93, v111
	s_waitcnt lgkmcnt(0)
	s_barrier
	buffer_gl0_inv
	v_fma_f32 v4, -0.5, v30, v4
	v_add_co_u32 v111, null, 0x288, v128
	v_add_f32_e32 v19, v8, v42
	v_add_f32_e32 v57, v10, v44
	v_sub_f32_e32 v115, v42, v53
	v_dual_add_f32 v117, v43, v101 :: v_dual_add_f32 v122, v53, v59
	s_delay_alu instid0(VALU_DEP_3)
	v_dual_add_f32 v19, v19, v53 :: v_dual_add_f32 v120, v57, v55
	v_dual_add_f32 v123, v54, v60 :: v_dual_sub_f32 v116, v53, v42
	v_sub_f32_e32 v57, v53, v59
	v_dual_add_f32 v53, v55, v61 :: v_dual_add_f32 v84, v84, v88
	v_add_f32_e32 v88, v92, v109
	v_fma_f32 v92, -0.5, v87, v0
	v_dual_sub_f32 v119, v54, v43 :: v_dual_add_f32 v58, v11, v45
	v_add_f32_e32 v94, v94, v96
	s_delay_alu instid0(VALU_DEP_3)
	v_dual_add_f32 v96, v98, v108 :: v_dual_fmamk_f32 v93, v65, 0xbf737871, v92
	v_fmac_f32_e32 v92, 0x3f737871, v65
	v_fma_f32 v98, -0.5, v86, v1
	v_add_f32_e32 v121, v58, v56
	v_add_f32_e32 v19, v19, v59
	v_fmac_f32_e32 v93, 0x3f167918, v67
	v_fmac_f32_e32 v92, 0xbf167918, v67
	s_delay_alu instid0(VALU_DEP_4) | instskip(SKIP_1) | instid1(VALU_DEP_4)
	v_dual_sub_f32 v124, v100, v59 :: v_dual_add_f32 v121, v121, v62
	v_fma_f32 v86, -0.5, v90, v7
	v_fmac_f32_e32 v93, 0x3e9e377a, v84
	v_add_f32_e32 v97, v99, v110
	v_fmamk_f32 v99, v66, 0x3f737871, v98
	v_fmac_f32_e32 v98, 0xbf737871, v66
	v_add_f32_e32 v28, v29, v40
	v_add_f32_e32 v29, v37, v41
	v_sub_f32_e32 v41, v43, v101
	v_fmac_f32_e32 v99, 0xbf167918, v70
	v_fmac_f32_e32 v92, 0x3e9e377a, v84
	;; [unrolled: 1-line block ×3, first 2 shown]
	v_fma_f32 v84, -0.5, v91, v6
	v_add_f32_e32 v114, v42, v100
	v_dual_sub_f32 v42, v42, v100 :: v_dual_fmamk_f32 v87, v107, 0x3f737871, v86
	v_fmac_f32_e32 v99, 0x3e9e377a, v85
	v_fmac_f32_e32 v98, 0x3e9e377a, v85
	v_fmamk_f32 v85, v105, 0xbf737871, v84
	v_fmac_f32_e32 v84, 0x3f737871, v105
	v_dual_sub_f32 v118, v43, v54 :: v_dual_fmac_f32 v87, 0xbf167918, v81
	v_sub_f32_e32 v125, v59, v100
	v_sub_f32_e32 v59, v62, v103
	v_dual_fmac_f32 v85, 0x3f167918, v80 :: v_dual_add_f32 v50, v9, v43
	v_fmac_f32_e32 v84, 0xbf167918, v80
	v_fma_f32 v6, -0.5, v104, v6
	v_fma_f32 v1, -0.5, v79, v1
	v_dual_add_f32 v46, v44, v102 :: v_dual_fmac_f32 v87, 0x3e9e377a, v89
	v_sub_f32_e32 v58, v54, v60
	v_dual_fmac_f32 v85, 0x3e9e377a, v88 :: v_dual_add_f32 v50, v50, v54
	s_delay_alu instid0(VALU_DEP_4)
	v_dual_add_f32 v54, v56, v62 :: v_dual_fmamk_f32 v79, v70, 0xbf737871, v1
	v_fmac_f32_e32 v84, 0x3e9e377a, v88
	v_fmamk_f32 v88, v80, 0x3f737871, v6
	v_sub_f32_e32 v43, v44, v55
	v_dual_sub_f32 v47, v55, v44 :: v_dual_sub_f32 v40, v44, v102
	v_dual_sub_f32 v44, v55, v61 :: v_dual_fmac_f32 v79, 0xbf167918, v66
	v_add_f32_e32 v50, v50, v60
	v_dual_fmac_f32 v88, 0x3f167918, v105 :: v_dual_sub_f32 v37, v45, v103
	v_add_f32_e32 v51, v45, v103
	v_sub_f32_e32 v49, v45, v56
	v_fmac_f32_e32 v79, 0x3e9e377a, v95
	v_fmac_f32_e32 v1, 0x3f737871, v70
	;; [unrolled: 1-line block ×3, first 2 shown]
	v_sub_f32_e32 v52, v56, v45
	v_sub_f32_e32 v45, v56, v62
	;; [unrolled: 1-line block ×3, first 2 shown]
	v_add_f32_e32 v62, v50, v101
	v_dual_add_f32 v50, v121, v103 :: v_dual_mul_f32 v103, 0xbf737871, v85
	v_dual_sub_f32 v126, v60, v101 :: v_dual_sub_f32 v127, v101, v60
	v_dual_sub_f32 v55, v102, v61 :: v_dual_sub_f32 v60, v61, v102
	s_delay_alu instid0(VALU_DEP_3) | instskip(SKIP_3) | instid1(VALU_DEP_4)
	v_dual_fmac_f32 v103, 0x3e9e377a, v87 :: v_dual_add_f32 v120, v120, v61
	v_add_f32_e32 v61, v19, v100
	v_fma_f32 v0, -0.5, v78, v0
	v_fmac_f32_e32 v6, 0xbf737871, v80
	v_dual_mul_f32 v100, 0x3f4f1bbd, v88 :: v_dual_add_f32 v19, v120, v102
	v_mul_f32_e32 v102, 0x3f737871, v87
	v_fma_f32 v7, -0.5, v106, v7
	v_fmamk_f32 v78, v67, 0x3f737871, v0
	v_fmac_f32_e32 v0, 0xbf737871, v67
	v_fmac_f32_e32 v6, 0xbf167918, v105
	;; [unrolled: 1-line block ×3, first 2 shown]
	v_dual_add_f32 v85, v83, v113 :: v_dual_fmac_f32 v86, 0xbf737871, v107
	v_add_f32_e32 v67, v115, v124
	v_mul_f32_e32 v101, 0xbf167918, v88
	v_fmac_f32_e32 v78, 0x3f167918, v65
	v_fmac_f32_e32 v6, 0x3e9e377a, v96
	;; [unrolled: 1-line block ×6, first 2 shown]
	v_mul_f32_e32 v65, 0xbf4f1bbd, v6
	v_fmac_f32_e32 v86, 0x3e9e377a, v89
	v_fmamk_f32 v89, v81, 0xbf737871, v7
	v_dual_fmac_f32 v7, 0x3f737871, v81 :: v_dual_add_f32 v88, v93, v102
	v_fmac_f32_e32 v1, 0x3e9e377a, v95
	s_delay_alu instid0(VALU_DEP_4) | instskip(NEXT) | instid1(VALU_DEP_4)
	v_mul_f32_e32 v106, 0xbe9e377a, v86
	v_fmac_f32_e32 v89, 0xbf167918, v107
	s_delay_alu instid0(VALU_DEP_4) | instskip(SKIP_1) | instid1(VALU_DEP_3)
	v_dual_fmac_f32 v7, 0x3f167918, v107 :: v_dual_add_f32 v64, v64, v77
	v_dual_sub_f32 v83, v83, v113 :: v_dual_add_f32 v66, v118, v127
	v_fmac_f32_e32 v89, 0x3e9e377a, v97
	s_delay_alu instid0(VALU_DEP_3)
	v_fmac_f32_e32 v7, 0x3e9e377a, v97
	v_mul_f32_e32 v104, 0xbe9e377a, v84
	v_fmac_f32_e32 v106, 0xbf737871, v84
	v_mul_lo_u16 v84, v20, 10
	v_fmac_f32_e32 v100, 0x3f167918, v89
	v_fmac_f32_e32 v101, 0x3f4f1bbd, v89
	;; [unrolled: 1-line block ×4, first 2 shown]
	v_and_b32_e32 v84, 0xffff, v84
	s_delay_alu instid0(VALU_DEP_4) | instskip(NEXT) | instid1(VALU_DEP_4)
	v_dual_add_f32 v86, v78, v100 :: v_dual_add_f32 v87, v79, v101
	v_dual_mul_f32 v7, 0xbf4f1bbd, v7 :: v_dual_add_f32 v90, v92, v104
	s_delay_alu instid0(VALU_DEP_3)
	v_lshlrev_b32_e32 v108, 3, v84
	v_dual_add_f32 v84, v82, v112 :: v_dual_add_f32 v89, v99, v103
	v_add_f32_e32 v91, v98, v106
	ds_store_b128 v108, v[84:87]
	ds_store_b128 v108, v[88:91] offset:16
	v_dual_sub_f32 v85, v79, v101 :: v_dual_fmac_f32 v0, 0x3e9e377a, v94
	v_dual_fmac_f32 v7, 0xbf167918, v6 :: v_dual_sub_f32 v82, v82, v112
	v_sub_f32_e32 v84, v78, v100
	v_sub_f32_e32 v86, v93, v102
	s_delay_alu instid0(VALU_DEP_3)
	v_dual_add_f32 v80, v0, v65 :: v_dual_add_f32 v81, v1, v7
	v_sub_f32_e32 v87, v99, v103
	scratch_store_b32 off, v108, off offset:252 ; 4-byte Folded Spill
	ds_store_b128 v108, v[80:83] offset:32
	ds_store_b128 v108, v[84:87] offset:48
	v_sub_f32_e32 v81, v1, v7
	v_fma_f32 v1, -0.5, v122, v8
	v_sub_f32_e32 v80, v0, v65
	v_fma_f32 v65, -0.5, v123, v9
	v_add_co_u32 v105, null, 0x144, v128
	s_delay_alu instid0(VALU_DEP_4) | instskip(SKIP_1) | instid1(VALU_DEP_4)
	v_fmamk_f32 v0, v41, 0x3f737871, v1
	v_fmac_f32_e32 v1, 0xbf737871, v41
	v_fmamk_f32 v6, v42, 0xbf737871, v65
	v_fmac_f32_e32 v65, 0x3f737871, v42
	v_add_co_u32 v109, null, 0x1e6, v128
	v_fmac_f32_e32 v0, 0x3f167918, v58
	s_delay_alu instid0(VALU_DEP_4) | instskip(NEXT) | instid1(VALU_DEP_4)
	v_dual_fmac_f32 v6, 0xbf167918, v57 :: v_dual_fmac_f32 v1, 0xbf167918, v58
	v_fmac_f32_e32 v65, 0x3f167918, v57
	v_add_co_u32 v110, null, 0x2d9, v128
	s_delay_alu instid0(VALU_DEP_4) | instskip(NEXT) | instid1(VALU_DEP_4)
	v_fmac_f32_e32 v0, 0x3e9e377a, v67
	v_dual_fmac_f32 v6, 0x3e9e377a, v66 :: v_dual_fmac_f32 v1, 0x3e9e377a, v67
	s_delay_alu instid0(VALU_DEP_2)
	v_mul_f32_e32 v71, 0x3f4f1bbd, v0
	v_mul_f32_e32 v70, 0xbf167918, v0
	v_add_f32_e32 v0, v68, v76
	v_fma_f32 v68, -0.5, v69, v3
	v_fmac_f32_e32 v3, -0.5, v74
	v_fma_f32 v69, -0.5, v73, v2
	v_fmac_f32_e32 v71, 0x3f167918, v6
	v_fmac_f32_e32 v70, 0x3f4f1bbd, v6
	s_delay_alu instid0(VALU_DEP_4) | instskip(SKIP_3) | instid1(VALU_DEP_4)
	v_dual_add_f32 v6, v72, v75 :: v_dual_fmamk_f32 v73, v13, 0x3f737871, v3
	v_fmac_f32_e32 v3, 0xbf737871, v13
	v_fmamk_f32 v72, v12, 0xbf737871, v69
	v_fmac_f32_e32 v69, 0x3f737871, v12
	v_dual_sub_f32 v78, v92, v104 :: v_dual_fmac_f32 v73, 0xbf167918, v17
	s_delay_alu instid0(VALU_DEP_3) | instskip(NEXT) | instid1(VALU_DEP_3)
	v_dual_fmac_f32 v3, 0x3f167918, v17 :: v_dual_fmac_f32 v72, 0x3f167918, v16
	v_fmac_f32_e32 v69, 0xbf167918, v16
	v_sub_f32_e32 v79, v98, v106
	s_delay_alu instid0(VALU_DEP_4) | instskip(NEXT) | instid1(VALU_DEP_4)
	v_fmac_f32_e32 v73, 0x3e9e377a, v6
	v_fmac_f32_e32 v3, 0x3e9e377a, v6
	v_fma_f32 v6, -0.5, v114, v8
	v_fma_f32 v8, -0.5, v117, v9
	v_fmac_f32_e32 v72, 0x3e9e377a, v0
	v_dual_fmac_f32 v69, 0x3e9e377a, v0 :: v_dual_add_f32 v0, v116, v125
	s_delay_alu instid0(VALU_DEP_4)
	v_fmamk_f32 v7, v58, 0xbf737871, v6
	v_fmac_f32_e32 v6, 0x3f737871, v58
	v_fmamk_f32 v9, v57, 0x3f737871, v8
	v_fmac_f32_e32 v8, 0xbf737871, v57
	v_fma_f32 v2, -0.5, v15, v2
	v_fmac_f32_e32 v7, 0x3f167918, v41
	s_delay_alu instid0(VALU_DEP_4) | instskip(NEXT) | instid1(VALU_DEP_4)
	v_dual_fmac_f32 v6, 0xbf167918, v41 :: v_dual_fmac_f32 v9, 0xbf167918, v42
	v_fmac_f32_e32 v8, 0x3f167918, v42
	v_add_co_u32 v104, null, 0x195, v128
	s_delay_alu instid0(VALU_DEP_4) | instskip(NEXT) | instid1(VALU_DEP_4)
	v_fmac_f32_e32 v7, 0x3e9e377a, v0
	v_fmac_f32_e32 v6, 0x3e9e377a, v0
	s_delay_alu instid0(VALU_DEP_2) | instskip(NEXT) | instid1(VALU_DEP_2)
	v_dual_add_f32 v0, v119, v126 :: v_dual_mul_f32 v77, 0xbf737871, v7
	v_mul_f32_e32 v74, 0xbe9e377a, v6
	s_delay_alu instid0(VALU_DEP_2)
	v_fmac_f32_e32 v9, 0x3e9e377a, v0
	ds_store_b128 v108, v[78:81] offset:64
	v_fmamk_f32 v78, v16, 0x3f737871, v2
	v_fmamk_f32 v79, v17, 0xbf737871, v68
	v_fmac_f32_e32 v8, 0x3e9e377a, v0
	v_add_co_u32 v0, s2, 0x51, v128
	s_delay_alu instid0(VALU_DEP_4) | instskip(NEXT) | instid1(VALU_DEP_4)
	v_fmac_f32_e32 v78, 0x3f167918, v12
	v_fmac_f32_e32 v79, 0xbf167918, v13
	;; [unrolled: 1-line block ×5, first 2 shown]
	v_mul_f32_e32 v76, 0x3f737871, v9
	v_mul_f32_e32 v75, 0xbe9e377a, v8
	v_dual_fmac_f32 v78, 0x3e9e377a, v63 :: v_dual_fmac_f32 v79, 0x3e9e377a, v64
	v_mul_u32_u24_e32 v15, 10, v0
	v_fmac_f32_e32 v2, 0xbf167918, v12
	v_fmac_f32_e32 v68, 0x3f167918, v13
	v_mul_f32_e32 v12, 0xbf4f1bbd, v1
	v_mul_f32_e32 v13, 0xbf4f1bbd, v65
	v_fmac_f32_e32 v77, 0x3e9e377a, v9
	v_fmac_f32_e32 v74, 0x3f737871, v8
	;; [unrolled: 1-line block ×3, first 2 shown]
	v_dual_add_f32 v17, v24, v38 :: v_dual_add_f32 v24, v43, v55
	v_fmac_f32_e32 v76, 0x3e9e377a, v7
	v_add_f32_e32 v6, v18, v61
	v_add_f32_e32 v8, v78, v71
	;; [unrolled: 1-line block ×4, first 2 shown]
	v_lshlrev_b32_e32 v15, 3, v15
	v_fmac_f32_e32 v2, 0x3e9e377a, v63
	v_fmac_f32_e32 v68, 0x3e9e377a, v64
	;; [unrolled: 1-line block ×4, first 2 shown]
	v_add_f32_e32 v81, v72, v76
	v_add_f32_e32 v83, v69, v74
	;; [unrolled: 1-line block ×4, first 2 shown]
	ds_store_b128 v15, v[6:9]
	ds_store_b128 v15, v[81:84] offset:16
	v_sub_f32_e32 v8, v18, v61
	v_sub_f32_e32 v9, v14, v62
	v_dual_add_f32 v6, v2, v12 :: v_dual_add_f32 v7, v68, v13
	v_sub_f32_e32 v81, v78, v71
	v_dual_sub_f32 v83, v72, v76 :: v_dual_sub_f32 v82, v79, v70
	v_sub_f32_e32 v84, v73, v77
	scratch_store_b32 off, v15, off offset:368 ; 4-byte Folded Spill
	ds_store_b128 v15, v[6:9] offset:32
	ds_store_b128 v15, v[81:84] offset:48
	v_dual_sub_f32 v7, v3, v75 :: v_dual_sub_f32 v8, v2, v12
	v_sub_f32_e32 v9, v68, v13
	v_dual_add_f32 v1, v47, v60 :: v_dual_sub_f32 v6, v69, v74
	v_fma_f32 v14, -0.5, v53, v10
	v_add_f32_e32 v18, v33, v39
	v_fma_f32 v2, -0.5, v54, v11
	v_add_f32_e32 v33, v49, v56
	ds_store_b128 v15, v[6:9] offset:64
	v_fmamk_f32 v9, v37, 0x3f737871, v14
	v_fma_f32 v6, -0.5, v46, v10
	v_fmac_f32_e32 v11, -0.5, v51
	v_dual_add_f32 v3, v52, v59 :: v_dual_fmac_f32 v14, 0xbf737871, v37
	s_delay_alu instid0(VALU_DEP_4) | instskip(NEXT) | instid1(VALU_DEP_4)
	v_fmac_f32_e32 v9, 0x3f167918, v45
	v_fmamk_f32 v7, v45, 0xbf737871, v6
	v_fmac_f32_e32 v6, 0x3f737871, v45
	v_add_co_u32 v108, null, 0x237, v128
	s_delay_alu instid0(VALU_DEP_4) | instskip(NEXT) | instid1(VALU_DEP_4)
	v_fmac_f32_e32 v9, 0x3e9e377a, v24
	v_fmac_f32_e32 v7, 0x3f167918, v37
	v_fmac_f32_e32 v14, 0xbf167918, v45
	v_add_co_ci_u32_e64 v80, null, 0, 0, s2
	s_delay_alu instid0(VALU_DEP_4)
	v_mul_f32_e32 v38, 0x3f4f1bbd, v9
	v_mul_f32_e32 v39, 0xbf167918, v9
	v_add_f32_e32 v9, v25, v36
	v_fma_f32 v25, -0.5, v34, v5
	v_fmac_f32_e32 v5, -0.5, v31
	v_fmamk_f32 v31, v26, 0xbf737871, v23
	v_dual_fmac_f32 v23, 0x3f737871, v26 :: v_dual_fmamk_f32 v30, v21, 0x3f737871, v4
	v_fmac_f32_e32 v4, 0xbf737871, v21
	v_fmac_f32_e32 v7, 0x3e9e377a, v1
	s_delay_alu instid0(VALU_DEP_4) | instskip(NEXT) | instid1(VALU_DEP_4)
	v_fmac_f32_e32 v31, 0x3f167918, v21
	v_fmac_f32_e32 v23, 0xbf167918, v21
	v_add_co_u32 v96, s2, 0xf3, v128
	v_fmac_f32_e32 v4, 0xbf167918, v26
	s_delay_alu instid0(VALU_DEP_4) | instskip(NEXT) | instid1(VALU_DEP_4)
	v_fmac_f32_e32 v31, 0x3e9e377a, v9
	v_fmac_f32_e32 v23, 0x3e9e377a, v9
	v_fmamk_f32 v10, v40, 0xbf737871, v2
	v_add_f32_e32 v9, v32, v35
	v_fmamk_f32 v35, v22, 0xbf737871, v25
	v_fmac_f32_e32 v4, 0x3e9e377a, v17
	v_fmamk_f32 v32, v27, 0x3f737871, v5
	v_fmac_f32_e32 v10, 0xbf167918, v44
	v_mul_f32_e32 v34, 0xbf737871, v7
	v_fmac_f32_e32 v35, 0xbf167918, v27
	v_fmac_f32_e32 v25, 0x3f737871, v22
	;; [unrolled: 1-line block ×9, first 2 shown]
	v_fmamk_f32 v8, v44, 0x3f737871, v11
	v_fmac_f32_e32 v11, 0xbf737871, v44
	v_fmac_f32_e32 v38, 0x3f167918, v10
	;; [unrolled: 1-line block ×7, first 2 shown]
	v_dual_fmac_f32 v25, 0x3e9e377a, v18 :: v_dual_fmac_f32 v30, 0x3e9e377a, v17
	s_delay_alu instid0(VALU_DEP_4) | instskip(NEXT) | instid1(VALU_DEP_4)
	v_fmac_f32_e32 v8, 0x3e9e377a, v3
	v_fmac_f32_e32 v11, 0x3e9e377a, v3
	;; [unrolled: 1-line block ×3, first 2 shown]
	v_dual_fmac_f32 v2, 0x3f167918, v44 :: v_dual_add_f32 v9, v35, v39
	s_delay_alu instid0(VALU_DEP_4) | instskip(SKIP_4) | instid1(VALU_DEP_4)
	v_fmac_f32_e32 v34, 0x3e9e377a, v8
	v_fmac_f32_e32 v6, 0xbf167918, v37
	v_mul_f32_e32 v16, 0xbe9e377a, v11
	v_dual_mul_f32 v3, 0x3f737871, v8 :: v_dual_add_f32 v8, v30, v38
	v_fmac_f32_e32 v14, 0x3e9e377a, v24
	v_fmac_f32_e32 v6, 0x3e9e377a, v1
	v_add_co_u32 v1, null, 0xa2, v128
	s_delay_alu instid0(VALU_DEP_4) | instskip(SKIP_1) | instid1(VALU_DEP_4)
	v_fmac_f32_e32 v3, 0x3e9e377a, v7
	v_add_f32_e32 v7, v29, v50
	v_mul_f32_e32 v15, 0xbe9e377a, v6
	s_delay_alu instid0(VALU_DEP_4) | instskip(SKIP_3) | instid1(VALU_DEP_4)
	v_mul_u32_u24_e32 v10, 10, v1
	v_fmac_f32_e32 v16, 0xbf737871, v6
	v_add_f32_e32 v6, v28, v19
	v_fmac_f32_e32 v2, 0x3e9e377a, v33
	v_dual_fmac_f32 v15, 0x3f737871, v11 :: v_dual_lshlrev_b32 v36, 3, v10
	v_dual_add_f32 v10, v31, v3 :: v_dual_add_f32 v11, v32, v34
	s_delay_alu instid0(VALU_DEP_2)
	v_dual_add_f32 v13, v5, v16 :: v_dual_add_f32 v12, v23, v15
	ds_store_b128 v36, v[6:9]
	ds_store_b128 v36, v[10:13] offset:16
	v_dual_sub_f32 v12, v31, v3 :: v_dual_mul_f32 v3, 0xbf4f1bbd, v14
	v_dual_sub_f32 v8, v28, v19 :: v_dual_sub_f32 v9, v29, v50
	v_dual_sub_f32 v10, v30, v38 :: v_dual_sub_f32 v11, v35, v39
	s_delay_alu instid0(VALU_DEP_3)
	v_fmac_f32_e32 v3, 0x3f167918, v2
	v_mul_f32_e32 v2, 0xbf4f1bbd, v2
	v_sub_f32_e32 v13, v32, v34
	scratch_store_b32 off, v36, off offset:288 ; 4-byte Folded Spill
	v_and_b32_e32 v21, 0xffff, v111
	v_add_f32_e32 v6, v4, v3
	v_dual_fmac_f32 v2, 0xbf167918, v14 :: v_dual_mov_b32 v49, v129
	s_delay_alu instid0(VALU_DEP_1)
	v_add_f32_e32 v7, v25, v2
	ds_store_b128 v36, v[6:9] offset:32
	ds_store_b128 v36, v[10:13] offset:48
	v_dual_sub_f32 v6, v5, v16 :: v_dual_sub_f32 v5, v23, v15
	v_dual_sub_f32 v7, v4, v3 :: v_dual_sub_f32 v8, v25, v2
	v_and_b32_e32 v9, 0xff, v0
	v_add_co_ci_u32_e64 v12, null, 0, 0, s2
	ds_store_b128 v36, v[5:8] offset:64
	v_and_b32_e32 v8, 0xff, v20
	s_waitcnt lgkmcnt(0)
	s_waitcnt_vscnt null, 0x0
	s_barrier
	buffer_gl0_inv
	ds_load_2addr_b64 v[25:28], v249 offset0:42 offset1:123
	v_mul_lo_u16 v2, 0xcd, v8
	s_delay_alu instid0(VALU_DEP_1) | instskip(SKIP_1) | instid1(VALU_DEP_1)
	v_lshrrev_b16 v16, 11, v2
	v_mul_lo_u16 v2, 0xcd, v9
	v_lshrrev_b16 v10, 11, v2
	s_delay_alu instid0(VALU_DEP_3) | instskip(NEXT) | instid1(VALU_DEP_2)
	v_mul_lo_u16 v2, v16, 10
	v_mul_lo_u16 v3, v10, 10
	s_delay_alu instid0(VALU_DEP_2) | instskip(NEXT) | instid1(VALU_DEP_2)
	v_sub_nc_u16 v2, v20, v2
	v_sub_nc_u16 v3, v0, v3
	s_delay_alu instid0(VALU_DEP_2) | instskip(NEXT) | instid1(VALU_DEP_2)
	v_and_b32_e32 v18, 0xff, v2
	v_and_b32_e32 v11, 0xff, v3
	s_delay_alu instid0(VALU_DEP_2) | instskip(NEXT) | instid1(VALU_DEP_2)
	v_lshlrev_b32_e32 v2, 4, v18
	v_lshlrev_b32_e32 v3, 4, v11
	s_clause 0x1
	global_load_b128 v[4:7], v2, s[10:11]
	global_load_b128 v[31:34], v3, s[10:11]
	s_waitcnt vmcnt(1) lgkmcnt(0)
	v_mul_f32_e32 v2, v26, v5
	scratch_store_b128 off, v[4:7], off offset:272 ; 16-byte Folded Spill
	s_waitcnt vmcnt(0)
	scratch_store_b128 off, v[31:34], off offset:256 ; 16-byte Folded Spill
	v_fma_f32 v24, v25, v4, -v2
	v_mul_f32_e32 v2, v28, v32
	v_mul_f32_e32 v17, v27, v32
	v_mul_f32_e32 v25, v25, v5
	s_delay_alu instid0(VALU_DEP_3) | instskip(NEXT) | instid1(VALU_DEP_3)
	v_fma_f32 v13, v27, v31, -v2
	v_fmac_f32_e32 v17, v28, v31
	ds_load_2addr_b64 v[27:30], v248 offset0:84 offset1:165
	s_waitcnt lgkmcnt(0)
	v_dual_fmac_f32 v25, v26, v4 :: v_dual_mul_f32 v2, v28, v7
	v_mul_f32_e32 v23, v29, v34
	s_delay_alu instid0(VALU_DEP_2) | instskip(SKIP_1) | instid1(VALU_DEP_2)
	v_fma_f32 v26, v27, v6, -v2
	v_dual_mul_f32 v27, v27, v7 :: v_dual_mul_f32 v2, v30, v34
	v_dual_fmac_f32 v23, v30, v33 :: v_dual_add_f32 v14, v24, v26
	s_delay_alu instid0(VALU_DEP_2) | instskip(NEXT) | instid1(VALU_DEP_3)
	v_dual_fmac_f32 v27, v28, v6 :: v_dual_and_b32 v28, 0xffff, v96
	v_fma_f32 v4, v29, v33, -v2
	v_and_b32_e32 v29, 0xff, v1
	s_delay_alu instid0(VALU_DEP_3) | instskip(NEXT) | instid1(VALU_DEP_4)
	v_sub_f32_e32 v99, v25, v27
	v_mul_u32_u24_e32 v2, 0xcccd, v28
	v_add_f32_e32 v15, v25, v27
	s_delay_alu instid0(VALU_DEP_2) | instskip(SKIP_1) | instid1(VALU_DEP_1)
	v_lshrrev_b32_e32 v50, 19, v2
	v_mul_lo_u16 v2, 0xcd, v29
	v_lshrrev_b16 v51, 11, v2
	s_delay_alu instid0(VALU_DEP_3) | instskip(NEXT) | instid1(VALU_DEP_1)
	v_mul_lo_u16 v2, v50, 10
	v_sub_nc_u16 v52, v96, v2
	s_delay_alu instid0(VALU_DEP_3) | instskip(NEXT) | instid1(VALU_DEP_2)
	v_mul_lo_u16 v2, v51, 10
	v_lshlrev_b16 v3, 1, v52
	s_delay_alu instid0(VALU_DEP_2) | instskip(NEXT) | instid1(VALU_DEP_2)
	v_sub_nc_u16 v2, v1, v2
	v_and_b32_e32 v3, 0xffff, v3
	s_delay_alu instid0(VALU_DEP_2) | instskip(NEXT) | instid1(VALU_DEP_2)
	v_and_b32_e32 v53, 0xff, v2
	v_lshlrev_b32_e32 v2, 3, v3
	s_delay_alu instid0(VALU_DEP_2)
	v_lshlrev_b32_e32 v3, 4, v53
	s_clause 0x1
	global_load_b128 v[172:175], v3, s[10:11]
	global_load_b128 v[168:171], v2, s[10:11]
	ds_load_2addr_b64 v[30:33], v253 offset0:76 offset1:157
	s_waitcnt vmcnt(1) lgkmcnt(0)
	v_mul_f32_e32 v2, v31, v173
	v_mul_f32_e32 v7, v30, v173
	s_waitcnt vmcnt(0)
	v_mul_f32_e32 v56, v32, v169
	s_delay_alu instid0(VALU_DEP_3) | instskip(NEXT) | instid1(VALU_DEP_3)
	v_fma_f32 v54, v30, v172, -v2
	v_dual_mul_f32 v2, v33, v169 :: v_dual_fmac_f32 v7, v31, v172
	s_delay_alu instid0(VALU_DEP_3) | instskip(NEXT) | instid1(VALU_DEP_2)
	v_fmac_f32_e32 v56, v33, v168
	v_fma_f32 v55, v32, v168, -v2
	ds_load_2addr_b64 v[30:33], v144 offset0:118 offset1:199
	s_waitcnt lgkmcnt(0)
	v_mul_f32_e32 v2, v31, v175
	v_mul_f32_e32 v58, v30, v175
	;; [unrolled: 1-line block ×3, first 2 shown]
	s_delay_alu instid0(VALU_DEP_3) | instskip(SKIP_4) | instid1(VALU_DEP_4)
	v_fma_f32 v57, v30, v174, -v2
	v_mul_f32_e32 v2, v33, v171
	v_and_b32_e32 v30, 0xffff, v105
	v_dual_fmac_f32 v58, v31, v174 :: v_dual_and_b32 v31, 0xffff, v104
	v_fmac_f32_e32 v60, v33, v170
	v_fma_f32 v59, v32, v170, -v2
	s_delay_alu instid0(VALU_DEP_4) | instskip(NEXT) | instid1(VALU_DEP_1)
	v_mul_u32_u24_e32 v2, 0xcccd, v30
	v_lshrrev_b32_e32 v61, 19, v2
	v_mul_u32_u24_e32 v2, 0xcccd, v31
	s_delay_alu instid0(VALU_DEP_1) | instskip(NEXT) | instid1(VALU_DEP_3)
	v_lshrrev_b32_e32 v62, 19, v2
	v_mul_lo_u16 v2, v61, 10
	s_delay_alu instid0(VALU_DEP_1) | instskip(NEXT) | instid1(VALU_DEP_3)
	v_sub_nc_u16 v63, v105, v2
	v_mul_lo_u16 v2, v62, 10
	s_delay_alu instid0(VALU_DEP_1) | instskip(NEXT) | instid1(VALU_DEP_3)
	v_sub_nc_u16 v64, v104, v2
	v_lshlrev_b16 v2, 1, v63
	s_delay_alu instid0(VALU_DEP_2) | instskip(NEXT) | instid1(VALU_DEP_2)
	v_lshlrev_b16 v3, 1, v64
	v_and_b32_e32 v2, 0xffff, v2
	s_delay_alu instid0(VALU_DEP_2) | instskip(NEXT) | instid1(VALU_DEP_2)
	v_and_b32_e32 v3, 0xffff, v3
	v_lshlrev_b32_e32 v2, 3, v2
	s_delay_alu instid0(VALU_DEP_2)
	v_lshlrev_b32_e32 v3, 3, v3
	s_clause 0x1
	global_load_b128 v[180:183], v2, s[10:11]
	global_load_b128 v[176:179], v3, s[10:11]
	ds_load_2addr_b64 v[32:35], v250 offset0:110 offset1:191
	s_waitcnt vmcnt(1) lgkmcnt(0)
	v_mul_f32_e32 v2, v33, v181
	v_mul_f32_e32 v66, v32, v181
	s_waitcnt vmcnt(0)
	v_mul_f32_e32 v68, v34, v177
	s_delay_alu instid0(VALU_DEP_3) | instskip(SKIP_2) | instid1(VALU_DEP_4)
	v_fma_f32 v65, v32, v180, -v2
	v_mul_f32_e32 v2, v35, v177
	v_fmac_f32_e32 v66, v33, v180
	v_fmac_f32_e32 v68, v35, v176
	s_delay_alu instid0(VALU_DEP_3)
	v_fma_f32 v67, v34, v176, -v2
	ds_load_2addr_b64 v[32:35], v233 offset0:152 offset1:233
	s_waitcnt lgkmcnt(0)
	v_mul_f32_e32 v2, v33, v183
	v_mul_f32_e32 v72, v34, v179
	;; [unrolled: 1-line block ×3, first 2 shown]
	s_delay_alu instid0(VALU_DEP_3) | instskip(SKIP_1) | instid1(VALU_DEP_4)
	v_fma_f32 v69, v32, v182, -v2
	v_mul_f32_e32 v2, v35, v179
	v_fmac_f32_e32 v72, v35, v178
	s_delay_alu instid0(VALU_DEP_4) | instskip(SKIP_4) | instid1(VALU_DEP_3)
	v_fmac_f32_e32 v70, v33, v182
	v_and_b32_e32 v22, 0xffff, v110
	v_and_b32_e32 v16, 0xffff, v16
	v_fma_f32 v71, v34, v178, -v2
	v_and_b32_e32 v2, 0xffff, v109
	v_mul_u32_u24_e32 v16, 30, v16
	s_delay_alu instid0(VALU_DEP_2) | instskip(NEXT) | instid1(VALU_DEP_1)
	v_mul_u32_u24_e32 v3, 0xcccd, v2
	v_lshrrev_b32_e32 v73, 19, v3
	v_and_b32_e32 v3, 0xffff, v108
	s_delay_alu instid0(VALU_DEP_1) | instskip(NEXT) | instid1(VALU_DEP_1)
	v_mul_u32_u24_e32 v5, 0xcccd, v3
	v_lshrrev_b32_e32 v74, 19, v5
	s_delay_alu instid0(VALU_DEP_4) | instskip(NEXT) | instid1(VALU_DEP_1)
	v_mul_lo_u16 v5, v73, 10
	v_sub_nc_u16 v75, v109, v5
	s_delay_alu instid0(VALU_DEP_3) | instskip(NEXT) | instid1(VALU_DEP_1)
	v_mul_lo_u16 v5, v74, 10
	v_sub_nc_u16 v76, v108, v5
	s_delay_alu instid0(VALU_DEP_3) | instskip(NEXT) | instid1(VALU_DEP_2)
	v_lshlrev_b16 v5, 1, v75
	v_lshlrev_b16 v6, 1, v76
	s_delay_alu instid0(VALU_DEP_2) | instskip(NEXT) | instid1(VALU_DEP_2)
	v_and_b32_e32 v5, 0xffff, v5
	v_and_b32_e32 v6, 0xffff, v6
	s_delay_alu instid0(VALU_DEP_2) | instskip(NEXT) | instid1(VALU_DEP_2)
	v_lshlrev_b32_e32 v5, 3, v5
	v_lshlrev_b32_e32 v6, 3, v6
	s_clause 0x1
	global_load_b128 v[188:191], v5, s[10:11]
	global_load_b128 v[184:187], v6, s[10:11]
	ds_load_2addr_b64 v[32:35], v251 offset0:16 offset1:97
	s_waitcnt vmcnt(1) lgkmcnt(0)
	v_mul_f32_e32 v5, v33, v189
	v_mul_f32_e32 v78, v32, v189
	s_waitcnt vmcnt(0)
	v_mul_f32_e32 v81, v34, v185
	s_delay_alu instid0(VALU_DEP_3) | instskip(NEXT) | instid1(VALU_DEP_3)
	v_fma_f32 v77, v32, v188, -v5
	v_dual_mul_f32 v5, v35, v185 :: v_dual_fmac_f32 v78, v33, v188
	s_delay_alu instid0(VALU_DEP_3) | instskip(NEXT) | instid1(VALU_DEP_2)
	v_fmac_f32_e32 v81, v35, v184
	v_fma_f32 v79, v34, v184, -v5
	ds_load_2addr_b64 v[32:35], v252 offset0:58 offset1:139
	s_waitcnt lgkmcnt(0)
	v_mul_f32_e32 v5, v33, v191
	v_mul_f32_e32 v83, v32, v191
	;; [unrolled: 1-line block ×3, first 2 shown]
	s_delay_alu instid0(VALU_DEP_3) | instskip(SKIP_1) | instid1(VALU_DEP_4)
	v_fma_f32 v82, v32, v190, -v5
	v_mul_f32_e32 v5, v35, v187
	v_fmac_f32_e32 v83, v33, v190
	s_delay_alu instid0(VALU_DEP_4) | instskip(SKIP_1) | instid1(VALU_DEP_4)
	v_fmac_f32_e32 v85, v35, v186
	v_and_b32_e32 v10, 0xffff, v10
	v_fma_f32 v84, v34, v186, -v5
	v_mul_u32_u24_e32 v5, 0xcccd, v21
	s_delay_alu instid0(VALU_DEP_3) | instskip(NEXT) | instid1(VALU_DEP_2)
	v_mul_u32_u24_e32 v10, 30, v10
	v_lshrrev_b32_e32 v86, 19, v5
	v_mul_u32_u24_e32 v5, 0xcccd, v22
	s_delay_alu instid0(VALU_DEP_1) | instskip(NEXT) | instid1(VALU_DEP_3)
	v_lshrrev_b32_e32 v87, 19, v5
	v_mul_lo_u16 v5, v86, 10
	s_delay_alu instid0(VALU_DEP_1) | instskip(NEXT) | instid1(VALU_DEP_3)
	v_sub_nc_u16 v88, v111, v5
	v_mul_lo_u16 v5, v87, 10
	s_delay_alu instid0(VALU_DEP_1) | instskip(NEXT) | instid1(VALU_DEP_3)
	v_sub_nc_u16 v89, v110, v5
	v_lshlrev_b16 v5, 1, v88
	s_delay_alu instid0(VALU_DEP_2) | instskip(NEXT) | instid1(VALU_DEP_2)
	v_lshlrev_b16 v6, 1, v89
	v_and_b32_e32 v5, 0xffff, v5
	s_delay_alu instid0(VALU_DEP_2) | instskip(NEXT) | instid1(VALU_DEP_2)
	v_and_b32_e32 v6, 0xffff, v6
	v_lshlrev_b32_e32 v5, 3, v5
	s_delay_alu instid0(VALU_DEP_2)
	v_lshlrev_b32_e32 v6, 3, v6
	s_clause 0x1
	global_load_b128 v[196:199], v5, s[10:11]
	global_load_b128 v[192:195], v6, s[10:11]
	ds_load_2addr_b64 v[32:35], v255 offset0:50 offset1:131
	s_waitcnt vmcnt(1) lgkmcnt(0)
	v_mul_f32_e32 v5, v33, v197
	v_mul_f32_e32 v91, v32, v197
	s_waitcnt vmcnt(0)
	v_mul_f32_e32 v93, v34, v193
	v_add_lshl_u32 v16, v16, v18, 3
	v_fma_f32 v90, v32, v196, -v5
	v_mul_f32_e32 v5, v35, v193
	v_fmac_f32_e32 v91, v33, v196
	v_fmac_f32_e32 v93, v35, v192
	scratch_store_b32 off, v16, off offset:544 ; 4-byte Folded Spill
	v_fma_f32 v92, v34, v192, -v5
	ds_load_2addr_b64 v[32:35], v129 offset0:92 offset1:173
	s_waitcnt lgkmcnt(0)
	v_mul_f32_e32 v5, v33, v199
	v_mul_f32_e32 v95, v32, v199
	;; [unrolled: 1-line block ×3, first 2 shown]
	s_delay_alu instid0(VALU_DEP_3) | instskip(SKIP_1) | instid1(VALU_DEP_4)
	v_fma_f32 v94, v32, v198, -v5
	v_mul_f32_e32 v5, v35, v195
	v_fmac_f32_e32 v95, v33, v198
	s_delay_alu instid0(VALU_DEP_4) | instskip(NEXT) | instid1(VALU_DEP_3)
	v_fmac_f32_e32 v98, v35, v194
	v_fma_f32 v97, v34, v194, -v5
	ds_load_2addr_b64 v[32:35], v48 offset1:81
	s_waitcnt lgkmcnt(0)
	v_add_f32_e32 v5, v33, v25
	v_fma_f32 v14, -0.5, v14, v32
	v_fma_f32 v15, -0.5, v15, v33
	s_delay_alu instid0(VALU_DEP_3) | instskip(SKIP_1) | instid1(VALU_DEP_2)
	v_dual_add_f32 v6, v5, v27 :: v_dual_add_f32 v5, v32, v24
	v_sub_f32_e32 v32, v24, v26
	v_dual_fmamk_f32 v18, v99, 0x3f5db3d7, v14 :: v_dual_add_f32 v5, v5, v26
	s_delay_alu instid0(VALU_DEP_2)
	v_fmamk_f32 v19, v32, 0xbf5db3d7, v15
	ds_load_2addr_b64 v[24:27], v48 offset0:162 offset1:243
	ds_load_2addr_b64 v[36:39], v254 offset0:68 offset1:149
	;; [unrolled: 1-line block ×4, first 2 shown]
	s_waitcnt lgkmcnt(0)
	s_waitcnt_vscnt null, 0x0
	s_barrier
	buffer_gl0_inv
	ds_store_2addr_b64 v16, v[5:6], v[18:19] offset1:10
	v_fmac_f32_e32 v14, 0xbf5db3d7, v99
	v_fmac_f32_e32 v15, 0x3f5db3d7, v32
	v_add_f32_e32 v5, v13, v4
	ds_store_b64 v16, v[14:15] offset:160
	v_add_f32_e32 v14, v34, v13
	v_fma_f32 v34, -0.5, v5, v34
	v_add_f32_e32 v5, v35, v17
	v_add_f32_e32 v15, v17, v23
	v_sub_f32_e32 v16, v17, v23
	s_delay_alu instid0(VALU_DEP_3) | instskip(NEXT) | instid1(VALU_DEP_3)
	v_dual_add_f32 v6, v5, v23 :: v_dual_add_f32 v5, v14, v4
	v_dual_fmac_f32 v35, -0.5, v15 :: v_dual_sub_f32 v4, v13, v4
	v_add_lshl_u32 v13, v10, v11, 3
	s_delay_alu instid0(VALU_DEP_4) | instskip(SKIP_1) | instid1(VALU_DEP_4)
	v_fmamk_f32 v10, v16, 0x3f5db3d7, v34
	v_fmac_f32_e32 v34, 0xbf5db3d7, v16
	v_dual_sub_f32 v14, v54, v57 :: v_dual_fmamk_f32 v11, v4, 0xbf5db3d7, v35
	v_fmac_f32_e32 v35, 0x3f5db3d7, v4
	scratch_store_b32 off, v13, off offset:540 ; 4-byte Folded Spill
	v_add_f32_e32 v4, v25, v7
	ds_store_2addr_b64 v13, v[5:6], v[10:11] offset1:10
	v_add_f32_e32 v10, v7, v58
	ds_store_b64 v13, v[34:35] offset:160
	v_dual_sub_f32 v13, v7, v58 :: v_dual_add_f32 v6, v54, v57
	v_add_f32_e32 v5, v4, v58
	v_fma_f32 v7, -0.5, v10, v25
	v_and_b32_e32 v10, 0xffff, v51
	v_add_f32_e32 v4, v24, v54
	v_fma_f32 v6, -0.5, v6, v24
	s_delay_alu instid0(VALU_DEP_4) | instskip(NEXT) | instid1(VALU_DEP_4)
	v_fmamk_f32 v11, v14, 0xbf5db3d7, v7
	v_mul_u32_u24_e32 v10, 30, v10
	s_delay_alu instid0(VALU_DEP_4) | instskip(SKIP_1) | instid1(VALU_DEP_3)
	v_dual_add_f32 v4, v4, v57 :: v_dual_fmac_f32 v7, 0x3f5db3d7, v14
	v_sub_f32_e32 v14, v65, v69
	v_add_lshl_u32 v15, v10, v53, 3
	v_fmamk_f32 v10, v13, 0x3f5db3d7, v6
	v_fmac_f32_e32 v6, 0xbf5db3d7, v13
	ds_store_2addr_b64 v15, v[4:5], v[10:11] offset1:10
	v_add_f32_e32 v4, v55, v59
	v_add_f32_e32 v10, v56, v60
	ds_store_b64 v15, v[6:7] offset:160
	v_add_f32_e32 v6, v26, v55
	v_mad_u16 v7, v50, 30, v52
	v_fma_f32 v26, -0.5, v4, v26
	v_dual_add_f32 v4, v27, v56 :: v_dual_fmac_f32 v27, -0.5, v10
	v_dual_sub_f32 v10, v55, v59 :: v_dual_sub_f32 v11, v56, v60
	s_delay_alu instid0(VALU_DEP_4) | instskip(NEXT) | instid1(VALU_DEP_3)
	v_dual_mov_b32 v100, v128 :: v_dual_and_b32 v13, 0xffff, v7
	v_add_f32_e32 v5, v4, v60
	s_delay_alu instid0(VALU_DEP_3) | instskip(SKIP_1) | instid1(VALU_DEP_4)
	v_fmamk_f32 v7, v10, 0xbf5db3d7, v27
	v_fmac_f32_e32 v27, 0x3f5db3d7, v10
	v_lshlrev_b32_e32 v13, 3, v13
	v_mad_u16 v10, v61, 30, v63
	scratch_store_b32 off, v15, off offset:536 ; 4-byte Folded Spill
	v_add_f32_e32 v4, v6, v59
	v_fmamk_f32 v6, v11, 0x3f5db3d7, v26
	scratch_store_b32 off, v13, off offset:532 ; 4-byte Folded Spill
	v_and_b32_e32 v15, 0xffff, v10
	ds_store_2addr_b64 v13, v[4:5], v[6:7] offset1:10
	v_add_f32_e32 v4, v37, v66
	v_dual_add_f32 v7, v66, v70 :: v_dual_add_f32 v6, v65, v69
	v_lshlrev_b32_e32 v15, 3, v15
	s_delay_alu instid0(VALU_DEP_3) | instskip(SKIP_1) | instid1(VALU_DEP_4)
	v_dual_fmac_f32 v26, 0xbf5db3d7, v11 :: v_dual_add_f32 v5, v4, v70
	v_add_f32_e32 v4, v36, v65
	v_fma_f32 v6, -0.5, v6, v36
	v_fma_f32 v7, -0.5, v7, v37
	ds_store_b64 v13, v[26:27] offset:160
	v_dual_sub_f32 v13, v66, v70 :: v_dual_add_f32 v4, v4, v69
	v_fmamk_f32 v11, v14, 0xbf5db3d7, v7
	s_delay_alu instid0(VALU_DEP_2)
	v_dual_fmac_f32 v7, 0x3f5db3d7, v14 :: v_dual_fmamk_f32 v10, v13, 0x3f5db3d7, v6
	v_fmac_f32_e32 v6, 0xbf5db3d7, v13
	v_sub_f32_e32 v14, v77, v82
	ds_store_2addr_b64 v15, v[4:5], v[10:11] offset1:10
	ds_store_b64 v15, v[6:7] offset:160
	v_add_f32_e32 v4, v67, v71
	v_mad_u16 v7, v62, 30, v64
	v_add_f32_e32 v10, v68, v72
	v_dual_add_f32 v6, v38, v67 :: v_dual_sub_f32 v11, v68, v72
	s_delay_alu instid0(VALU_DEP_4) | instskip(NEXT) | instid1(VALU_DEP_3)
	v_fma_f32 v38, -0.5, v4, v38
	v_dual_add_f32 v4, v39, v68 :: v_dual_fmac_f32 v39, -0.5, v10
	v_sub_f32_e32 v10, v67, v71
	v_and_b32_e32 v13, 0xffff, v7
	s_delay_alu instid0(VALU_DEP_3) | instskip(SKIP_1) | instid1(VALU_DEP_4)
	v_dual_add_f32 v5, v4, v72 :: v_dual_add_f32 v4, v6, v71
	v_fmamk_f32 v6, v11, 0x3f5db3d7, v38
	v_fmamk_f32 v7, v10, 0xbf5db3d7, v39
	s_delay_alu instid0(VALU_DEP_4)
	v_dual_fmac_f32 v38, 0xbf5db3d7, v11 :: v_dual_lshlrev_b32 v13, 3, v13
	v_fmac_f32_e32 v39, 0x3f5db3d7, v10
	v_mad_u16 v10, v73, 30, v75
	s_clause 0x1
	scratch_store_b32 off, v15, off offset:528
	scratch_store_b32 off, v13, off offset:524
	ds_store_2addr_b64 v13, v[4:5], v[6:7] offset1:10
	v_dual_add_f32 v4, v41, v78 :: v_dual_add_f32 v7, v78, v83
	v_add_f32_e32 v6, v77, v82
	ds_store_b64 v13, v[38:39] offset:160
	v_sub_f32_e32 v13, v78, v83
	v_add_f32_e32 v5, v4, v83
	v_add_f32_e32 v4, v40, v77
	v_fma_f32 v6, -0.5, v6, v40
	v_fma_f32 v7, -0.5, v7, v41
	v_and_b32_e32 v15, 0xffff, v10
	s_delay_alu instid0(VALU_DEP_4) | instskip(NEXT) | instid1(VALU_DEP_4)
	v_add_f32_e32 v4, v4, v82
	v_fmamk_f32 v10, v13, 0x3f5db3d7, v6
	s_delay_alu instid0(VALU_DEP_4) | instskip(NEXT) | instid1(VALU_DEP_4)
	v_fmamk_f32 v11, v14, 0xbf5db3d7, v7
	v_dual_fmac_f32 v6, 0xbf5db3d7, v13 :: v_dual_lshlrev_b32 v15, 3, v15
	v_fmac_f32_e32 v7, 0x3f5db3d7, v14
	v_sub_f32_e32 v14, v90, v94
	ds_store_2addr_b64 v15, v[4:5], v[10:11] offset1:10
	v_add_f32_e32 v4, v79, v84
	ds_store_b64 v15, v[6:7] offset:160
	v_mad_u16 v7, v74, 30, v76
	v_add_f32_e32 v10, v81, v85
	v_add_f32_e32 v6, v42, v79
	v_fma_f32 v42, -0.5, v4, v42
	v_add_f32_e32 v4, v43, v81
	v_sub_f32_e32 v11, v81, v85
	v_dual_fmac_f32 v43, -0.5, v10 :: v_dual_sub_f32 v10, v79, v84
	v_and_b32_e32 v13, 0xffff, v7
	s_delay_alu instid0(VALU_DEP_4) | instskip(NEXT) | instid1(VALU_DEP_4)
	v_dual_add_f32 v5, v4, v85 :: v_dual_add_f32 v4, v6, v84
	v_fmamk_f32 v6, v11, 0x3f5db3d7, v42
	s_delay_alu instid0(VALU_DEP_4) | instskip(NEXT) | instid1(VALU_DEP_4)
	v_fmamk_f32 v7, v10, 0xbf5db3d7, v43
	v_dual_fmac_f32 v42, 0xbf5db3d7, v11 :: v_dual_lshlrev_b32 v13, 3, v13
	v_fmac_f32_e32 v43, 0x3f5db3d7, v10
	v_mad_u16 v10, v86, 30, v88
	s_clause 0x1
	scratch_store_b32 off, v15, off offset:520
	scratch_store_b32 off, v13, off offset:516
	ds_store_2addr_b64 v13, v[4:5], v[6:7] offset1:10
	v_add_f32_e32 v4, v45, v91
	v_dual_add_f32 v7, v91, v95 :: v_dual_add_f32 v6, v90, v94
	ds_store_b64 v13, v[42:43] offset:160
	v_sub_f32_e32 v13, v91, v95
	v_add_f32_e32 v5, v4, v95
	v_add_f32_e32 v4, v44, v90
	v_fma_f32 v6, -0.5, v6, v44
	v_fma_f32 v7, -0.5, v7, v45
	v_and_b32_e32 v15, 0xffff, v10
	s_delay_alu instid0(VALU_DEP_4) | instskip(NEXT) | instid1(VALU_DEP_4)
	v_add_f32_e32 v4, v4, v94
	v_fmamk_f32 v10, v13, 0x3f5db3d7, v6
	s_delay_alu instid0(VALU_DEP_4) | instskip(NEXT) | instid1(VALU_DEP_4)
	v_fmamk_f32 v11, v14, 0xbf5db3d7, v7
	v_dual_fmac_f32 v6, 0xbf5db3d7, v13 :: v_dual_lshlrev_b32 v15, 3, v15
	v_fmac_f32_e32 v7, 0x3f5db3d7, v14
	ds_store_2addr_b64 v15, v[4:5], v[10:11] offset1:10
	v_add_f32_e32 v4, v92, v97
	ds_store_b64 v15, v[6:7] offset:160
	v_mad_u16 v7, v87, 30, v89
	v_add_f32_e32 v10, v93, v98
	v_add_f32_e32 v6, v46, v92
	v_fma_f32 v46, -0.5, v4, v46
	v_dual_add_f32 v4, v47, v93 :: v_dual_sub_f32 v11, v93, v98
	s_delay_alu instid0(VALU_DEP_4) | instskip(SKIP_1) | instid1(VALU_DEP_3)
	v_dual_fmac_f32 v47, -0.5, v10 :: v_dual_sub_f32 v10, v92, v97
	v_and_b32_e32 v13, 0xffff, v7
	v_dual_add_f32 v5, v4, v98 :: v_dual_add_f32 v4, v6, v97
	s_delay_alu instid0(VALU_DEP_4) | instskip(NEXT) | instid1(VALU_DEP_4)
	v_fmamk_f32 v6, v11, 0x3f5db3d7, v46
	v_fmamk_f32 v7, v10, 0xbf5db3d7, v47
	s_delay_alu instid0(VALU_DEP_4)
	v_dual_fmac_f32 v46, 0xbf5db3d7, v11 :: v_dual_lshlrev_b32 v13, 3, v13
	v_fmac_f32_e32 v47, 0x3f5db3d7, v10
	scratch_store_b32 off, v15, off offset:512 ; 4-byte Folded Spill
	v_mov_b32_e32 v97, v144
	scratch_store_b32 off, v13, off offset:508 ; 4-byte Folded Spill
	ds_store_2addr_b64 v13, v[4:5], v[6:7] offset1:10
	v_mul_lo_u16 v4, 0x89, v8
	v_mul_lo_u16 v5, 0x89, v9
	ds_store_b64 v13, v[46:47] offset:160
	s_waitcnt lgkmcnt(0)
	s_waitcnt_vscnt null, 0x0
	s_barrier
	v_lshrrev_b16 v11, 12, v4
	v_lshrrev_b16 v19, 12, v5
	buffer_gl0_inv
	v_mov_b32_e32 v212, v97
	v_mul_lo_u16 v4, v11, 30
	v_mul_lo_u16 v5, v19, 30
	v_and_b32_e32 v11, 0xffff, v11
	s_delay_alu instid0(VALU_DEP_3) | instskip(NEXT) | instid1(VALU_DEP_3)
	v_sub_nc_u16 v4, v20, v4
	v_sub_nc_u16 v5, v0, v5
	s_delay_alu instid0(VALU_DEP_3) | instskip(NEXT) | instid1(VALU_DEP_3)
	v_mul_u32_u24_e32 v11, 0x5a, v11
	v_and_b32_e32 v13, 0xff, v4
	s_delay_alu instid0(VALU_DEP_3) | instskip(NEXT) | instid1(VALU_DEP_2)
	v_and_b32_e32 v27, 0xff, v5
	v_lshlrev_b32_e32 v4, 4, v13
	s_delay_alu instid0(VALU_DEP_2)
	v_lshlrev_b32_e32 v5, 4, v27
	s_clause 0x1
	global_load_b128 v[132:135], v4, s[10:11] offset:160
	global_load_b128 v[128:131], v5, s[10:11] offset:160
	ds_load_2addr_b64 v[5:8], v249 offset0:42 offset1:123
	v_add_lshl_u32 v11, v11, v13, 3
	s_waitcnt vmcnt(1) lgkmcnt(0)
	v_mul_f32_e32 v4, v6, v133
	v_mul_f32_e32 v15, v5, v133
	s_waitcnt vmcnt(0)
	v_mul_f32_e32 v41, v7, v129
	s_delay_alu instid0(VALU_DEP_3) | instskip(NEXT) | instid1(VALU_DEP_3)
	v_fma_f32 v14, v5, v132, -v4
	v_dual_mul_f32 v4, v8, v129 :: v_dual_fmac_f32 v15, v6, v132
	s_delay_alu instid0(VALU_DEP_3) | instskip(NEXT) | instid1(VALU_DEP_2)
	v_fmac_f32_e32 v41, v8, v128
	v_fma_f32 v40, v7, v128, -v4
	ds_load_2addr_b64 v[5:8], v248 offset0:84 offset1:165
	s_waitcnt lgkmcnt(0)
	v_mul_f32_e32 v17, v5, v135
	v_mul_f32_e32 v43, v7, v131
	s_delay_alu instid0(VALU_DEP_2) | instskip(NEXT) | instid1(VALU_DEP_2)
	v_fmac_f32_e32 v17, v6, v134
	v_dual_mul_f32 v4, v6, v135 :: v_dual_fmac_f32 v43, v8, v130
	s_delay_alu instid0(VALU_DEP_2) | instskip(NEXT) | instid1(VALU_DEP_2)
	v_sub_f32_e32 v95, v15, v17
	v_fma_f32 v16, v5, v134, -v4
	v_mul_f32_e32 v4, v8, v131
	s_delay_alu instid0(VALU_DEP_1) | instskip(SKIP_1) | instid1(VALU_DEP_1)
	v_fma_f32 v42, v7, v130, -v4
	v_mul_u32_u24_e32 v4, 0x8889, v28
	v_lshrrev_b32_e32 v44, 20, v4
	v_mul_lo_u16 v4, 0x89, v29
	s_delay_alu instid0(VALU_DEP_1) | instskip(NEXT) | instid1(VALU_DEP_3)
	v_lshrrev_b16 v45, 12, v4
	v_mul_lo_u16 v4, v44, 30
	s_delay_alu instid0(VALU_DEP_1) | instskip(NEXT) | instid1(VALU_DEP_3)
	v_sub_nc_u16 v46, v96, v4
	v_mul_lo_u16 v4, v45, 30
	s_delay_alu instid0(VALU_DEP_2) | instskip(NEXT) | instid1(VALU_DEP_2)
	v_lshlrev_b16 v5, 4, v46
	v_sub_nc_u16 v4, v1, v4
	s_delay_alu instid0(VALU_DEP_2) | instskip(NEXT) | instid1(VALU_DEP_2)
	v_and_b32_e32 v5, 0xffff, v5
	v_and_b32_e32 v47, 0xff, v4
	s_delay_alu instid0(VALU_DEP_2) | instskip(NEXT) | instid1(VALU_DEP_1)
	v_add_co_u32 v4, s2, s10, v5
	v_add_co_ci_u32_e64 v5, null, s11, 0, s2
	s_delay_alu instid0(VALU_DEP_3)
	v_lshlrev_b32_e32 v6, 4, v47
	s_clause 0x1
	global_load_b128 v[136:139], v[4:5], off offset:160
	global_load_b128 v[140:143], v6, s[10:11] offset:160
	ds_load_2addr_b64 v[5:8], v253 offset0:76 offset1:157
	s_waitcnt vmcnt(1) lgkmcnt(0)
	v_mul_f32_e32 v53, v7, v137
	s_waitcnt vmcnt(0)
	v_mul_f32_e32 v4, v6, v141
	v_mul_f32_e32 v51, v5, v141
	s_delay_alu instid0(VALU_DEP_3) | instskip(NEXT) | instid1(VALU_DEP_3)
	v_fmac_f32_e32 v53, v8, v136
	v_fma_f32 v50, v5, v140, -v4
	s_delay_alu instid0(VALU_DEP_3) | instskip(NEXT) | instid1(VALU_DEP_1)
	v_dual_mul_f32 v4, v8, v137 :: v_dual_fmac_f32 v51, v6, v140
	v_fma_f32 v52, v7, v136, -v4
	ds_load_2addr_b64 v[5:8], v144 offset0:118 offset1:199
	s_waitcnt lgkmcnt(0)
	v_mul_f32_e32 v4, v6, v143
	v_mul_f32_e32 v55, v5, v143
	;; [unrolled: 1-line block ×3, first 2 shown]
	s_delay_alu instid0(VALU_DEP_3) | instskip(NEXT) | instid1(VALU_DEP_3)
	v_fma_f32 v54, v5, v142, -v4
	v_dual_mul_f32 v4, v8, v139 :: v_dual_fmac_f32 v55, v6, v142
	s_delay_alu instid0(VALU_DEP_3) | instskip(NEXT) | instid1(VALU_DEP_2)
	v_fmac_f32_e32 v57, v8, v138
	v_fma_f32 v56, v7, v138, -v4
	v_mul_u32_u24_e32 v4, 0x8889, v30
	s_delay_alu instid0(VALU_DEP_1) | instskip(SKIP_1) | instid1(VALU_DEP_1)
	v_lshrrev_b32_e32 v58, 20, v4
	v_mul_u32_u24_e32 v4, 0x8889, v31
	v_lshrrev_b32_e32 v59, 20, v4
	s_delay_alu instid0(VALU_DEP_3) | instskip(NEXT) | instid1(VALU_DEP_1)
	v_mul_lo_u16 v4, v58, 30
	v_sub_nc_u16 v60, v105, v4
	s_delay_alu instid0(VALU_DEP_3) | instskip(NEXT) | instid1(VALU_DEP_1)
	v_mul_lo_u16 v4, v59, 30
	v_sub_nc_u16 v61, v104, v4
	s_delay_alu instid0(VALU_DEP_3) | instskip(NEXT) | instid1(VALU_DEP_2)
	v_lshlrev_b16 v4, 4, v60
	v_lshlrev_b16 v5, 4, v61
	s_delay_alu instid0(VALU_DEP_2) | instskip(NEXT) | instid1(VALU_DEP_2)
	v_and_b32_e32 v4, 0xffff, v4
	v_and_b32_e32 v6, 0xffff, v5
	s_delay_alu instid0(VALU_DEP_2) | instskip(NEXT) | instid1(VALU_DEP_1)
	v_add_co_u32 v4, s2, s10, v4
	v_add_co_ci_u32_e64 v5, null, s11, 0, s2
	s_delay_alu instid0(VALU_DEP_3) | instskip(NEXT) | instid1(VALU_DEP_1)
	v_add_co_u32 v6, s2, s10, v6
	v_add_co_ci_u32_e64 v7, null, s11, 0, s2
	s_clause 0x1
	global_load_b128 v[148:151], v[4:5], off offset:160
	global_load_b128 v[144:147], v[6:7], off offset:160
	ds_load_2addr_b64 v[5:8], v250 offset0:110 offset1:191
	s_waitcnt vmcnt(1) lgkmcnt(0)
	v_mul_f32_e32 v4, v6, v149
	v_mul_f32_e32 v63, v5, v149
	s_waitcnt vmcnt(0)
	v_mul_f32_e32 v65, v7, v145
	s_delay_alu instid0(VALU_DEP_3) | instskip(NEXT) | instid1(VALU_DEP_3)
	v_fma_f32 v62, v5, v148, -v4
	v_dual_mul_f32 v4, v8, v145 :: v_dual_fmac_f32 v63, v6, v148
	s_delay_alu instid0(VALU_DEP_3) | instskip(NEXT) | instid1(VALU_DEP_2)
	v_fmac_f32_e32 v65, v8, v144
	v_fma_f32 v64, v7, v144, -v4
	ds_load_2addr_b64 v[5:8], v233 offset0:152 offset1:233
	s_waitcnt lgkmcnt(0)
	v_mul_f32_e32 v4, v6, v151
	v_mul_f32_e32 v67, v5, v151
	;; [unrolled: 1-line block ×3, first 2 shown]
	s_delay_alu instid0(VALU_DEP_3) | instskip(NEXT) | instid1(VALU_DEP_3)
	v_fma_f32 v66, v5, v150, -v4
	v_dual_mul_f32 v4, v8, v147 :: v_dual_fmac_f32 v67, v6, v150
	s_delay_alu instid0(VALU_DEP_3) | instskip(NEXT) | instid1(VALU_DEP_2)
	v_fmac_f32_e32 v69, v8, v146
	v_fma_f32 v68, v7, v146, -v4
	v_mul_u32_u24_e32 v4, 0x8889, v2
	s_delay_alu instid0(VALU_DEP_1) | instskip(SKIP_1) | instid1(VALU_DEP_1)
	v_lshrrev_b32_e32 v70, 20, v4
	v_mul_u32_u24_e32 v4, 0x8889, v3
	v_lshrrev_b32_e32 v71, 20, v4
	s_delay_alu instid0(VALU_DEP_3) | instskip(NEXT) | instid1(VALU_DEP_1)
	v_mul_lo_u16 v4, v70, 30
	v_sub_nc_u16 v72, v109, v4
	s_delay_alu instid0(VALU_DEP_3) | instskip(NEXT) | instid1(VALU_DEP_1)
	v_mul_lo_u16 v4, v71, 30
	v_sub_nc_u16 v73, v108, v4
	s_delay_alu instid0(VALU_DEP_3) | instskip(NEXT) | instid1(VALU_DEP_2)
	v_lshlrev_b16 v4, 4, v72
	v_lshlrev_b16 v5, 4, v73
	s_delay_alu instid0(VALU_DEP_2) | instskip(NEXT) | instid1(VALU_DEP_2)
	v_and_b32_e32 v4, 0xffff, v4
	v_and_b32_e32 v6, 0xffff, v5
	s_delay_alu instid0(VALU_DEP_2) | instskip(NEXT) | instid1(VALU_DEP_1)
	v_add_co_u32 v4, s2, s10, v4
	v_add_co_ci_u32_e64 v5, null, s11, 0, s2
	s_delay_alu instid0(VALU_DEP_3) | instskip(NEXT) | instid1(VALU_DEP_1)
	v_add_co_u32 v6, s2, s10, v6
	v_add_co_ci_u32_e64 v7, null, s11, 0, s2
	s_clause 0x1
	global_load_b128 v[156:159], v[4:5], off offset:160
	global_load_b128 v[152:155], v[6:7], off offset:160
	ds_load_2addr_b64 v[5:8], v251 offset0:16 offset1:97
	s_waitcnt vmcnt(1) lgkmcnt(0)
	v_mul_f32_e32 v4, v6, v157
	v_mul_f32_e32 v75, v5, v157
	s_waitcnt vmcnt(0)
	v_mul_f32_e32 v77, v7, v153
	s_delay_alu instid0(VALU_DEP_3) | instskip(NEXT) | instid1(VALU_DEP_3)
	v_fma_f32 v74, v5, v156, -v4
	v_dual_mul_f32 v4, v8, v153 :: v_dual_fmac_f32 v75, v6, v156
	s_delay_alu instid0(VALU_DEP_3) | instskip(NEXT) | instid1(VALU_DEP_2)
	v_fmac_f32_e32 v77, v8, v152
	v_fma_f32 v76, v7, v152, -v4
	ds_load_2addr_b64 v[5:8], v252 offset0:58 offset1:139
	s_waitcnt lgkmcnt(0)
	v_mul_f32_e32 v4, v6, v159
	v_mul_f32_e32 v79, v5, v159
	;; [unrolled: 1-line block ×3, first 2 shown]
	s_delay_alu instid0(VALU_DEP_3) | instskip(NEXT) | instid1(VALU_DEP_3)
	v_fma_f32 v78, v5, v158, -v4
	v_dual_mul_f32 v4, v8, v155 :: v_dual_fmac_f32 v79, v6, v158
	s_delay_alu instid0(VALU_DEP_3) | instskip(NEXT) | instid1(VALU_DEP_2)
	v_fmac_f32_e32 v82, v8, v154
	v_fma_f32 v81, v7, v154, -v4
	v_mul_u32_u24_e32 v4, 0x8889, v21
	s_delay_alu instid0(VALU_DEP_1) | instskip(SKIP_1) | instid1(VALU_DEP_1)
	v_lshrrev_b32_e32 v83, 20, v4
	v_mul_u32_u24_e32 v4, 0x8889, v22
	v_lshrrev_b32_e32 v84, 20, v4
	s_delay_alu instid0(VALU_DEP_3) | instskip(NEXT) | instid1(VALU_DEP_1)
	v_mul_lo_u16 v4, v83, 30
	v_sub_nc_u16 v85, v111, v4
	s_delay_alu instid0(VALU_DEP_3) | instskip(NEXT) | instid1(VALU_DEP_1)
	v_mul_lo_u16 v4, v84, 30
	v_sub_nc_u16 v86, v110, v4
	s_delay_alu instid0(VALU_DEP_3) | instskip(NEXT) | instid1(VALU_DEP_2)
	v_lshlrev_b16 v4, 4, v85
	v_lshlrev_b16 v5, 4, v86
	s_delay_alu instid0(VALU_DEP_2) | instskip(NEXT) | instid1(VALU_DEP_2)
	v_and_b32_e32 v4, 0xffff, v4
	v_and_b32_e32 v6, 0xffff, v5
	s_delay_alu instid0(VALU_DEP_2) | instskip(NEXT) | instid1(VALU_DEP_1)
	v_add_co_u32 v4, s2, s10, v4
	v_add_co_ci_u32_e64 v5, null, s11, 0, s2
	s_delay_alu instid0(VALU_DEP_3) | instskip(NEXT) | instid1(VALU_DEP_1)
	v_add_co_u32 v6, s2, s10, v6
	v_add_co_ci_u32_e64 v7, null, s11, 0, s2
	s_clause 0x1
	global_load_b128 v[164:167], v[4:5], off offset:160
	global_load_b128 v[160:163], v[6:7], off offset:160
	ds_load_2addr_b64 v[5:8], v255 offset0:50 offset1:131
	scratch_store_b32 off, v11, off offset:504 ; 4-byte Folded Spill
	s_waitcnt vmcnt(1) lgkmcnt(0)
	v_mul_f32_e32 v4, v6, v165
	v_mul_f32_e32 v88, v5, v165
	s_waitcnt vmcnt(0)
	v_mul_f32_e32 v90, v7, v161
	s_delay_alu instid0(VALU_DEP_3) | instskip(SKIP_2) | instid1(VALU_DEP_4)
	v_fma_f32 v87, v5, v164, -v4
	v_mul_f32_e32 v4, v8, v161
	v_fmac_f32_e32 v88, v6, v164
	v_fmac_f32_e32 v90, v8, v160
	s_delay_alu instid0(VALU_DEP_3)
	v_fma_f32 v89, v7, v160, -v4
	ds_load_2addr_b64 v[5:8], v49 offset0:92 offset1:173
	s_waitcnt lgkmcnt(0)
	v_mul_f32_e32 v4, v6, v167
	v_mul_f32_e32 v92, v5, v167
	;; [unrolled: 1-line block ×3, first 2 shown]
	s_delay_alu instid0(VALU_DEP_3) | instskip(SKIP_1) | instid1(VALU_DEP_4)
	v_fma_f32 v91, v5, v166, -v4
	v_mul_f32_e32 v4, v8, v163
	v_fmac_f32_e32 v92, v6, v166
	s_delay_alu instid0(VALU_DEP_4) | instskip(NEXT) | instid1(VALU_DEP_3)
	v_fmac_f32_e32 v94, v8, v162
	v_fma_f32 v93, v7, v162, -v4
	ds_load_2addr_b64 v[5:8], v48 offset1:81
	s_waitcnt lgkmcnt(0)
	v_add_f32_e32 v4, v5, v14
	v_dual_add_f32 v10, v6, v15 :: v_dual_add_f32 v15, v15, v17
	s_delay_alu instid0(VALU_DEP_2) | instskip(SKIP_1) | instid1(VALU_DEP_3)
	v_add_f32_e32 v9, v4, v16
	v_add_f32_e32 v4, v14, v16
	;; [unrolled: 1-line block ×3, first 2 shown]
	s_delay_alu instid0(VALU_DEP_2)
	v_fma_f32 v4, -0.5, v4, v5
	v_fma_f32 v5, -0.5, v15, v6
	v_sub_f32_e32 v6, v14, v16
	ds_load_2addr_b64 v[15:18], v48 offset0:162 offset1:243
	ds_load_2addr_b64 v[23:26], v254 offset0:68 offset1:149
	;; [unrolled: 1-line block ×4, first 2 shown]
	s_waitcnt lgkmcnt(0)
	s_waitcnt_vscnt null, 0x0
	v_fmamk_f32 v13, v95, 0x3f5db3d7, v4
	v_fmac_f32_e32 v4, 0xbf5db3d7, v95
	v_fmamk_f32 v14, v6, 0xbf5db3d7, v5
	v_fmac_f32_e32 v5, 0x3f5db3d7, v6
	s_barrier
	buffer_gl0_inv
	v_add_f32_e32 v6, v8, v41
	ds_store_2addr_b64 v11, v[9:10], v[13:14] offset1:30
	ds_store_b64 v11, v[4:5] offset:480
	v_dual_add_f32 v4, v40, v42 :: v_dual_add_f32 v5, v7, v40
	v_and_b32_e32 v9, 0xffff, v19
	v_sub_f32_e32 v11, v41, v43
	s_delay_alu instid0(VALU_DEP_3) | instskip(NEXT) | instid1(VALU_DEP_4)
	v_fma_f32 v7, -0.5, v4, v7
	v_dual_add_f32 v4, v5, v42 :: v_dual_add_f32 v5, v6, v43
	v_add_f32_e32 v6, v41, v43
	v_mul_u32_u24_e32 v9, 0x5a, v9
	s_delay_alu instid0(VALU_DEP_2) | instskip(SKIP_1) | instid1(VALU_DEP_3)
	v_fmac_f32_e32 v8, -0.5, v6
	v_sub_f32_e32 v6, v40, v42
	v_add_lshl_u32 v13, v9, v27, 3
	v_fmamk_f32 v9, v11, 0x3f5db3d7, v7
	v_fmac_f32_e32 v7, 0xbf5db3d7, v11
	v_sub_f32_e32 v11, v50, v54
	v_fmamk_f32 v10, v6, 0xbf5db3d7, v8
	v_fmac_f32_e32 v8, 0x3f5db3d7, v6
	v_add_f32_e32 v6, v50, v54
	scratch_store_b32 off, v13, off offset:500 ; 4-byte Folded Spill
	ds_store_2addr_b64 v13, v[4:5], v[9:10] offset1:30
	ds_store_b64 v13, v[7:8] offset:480
	v_dual_add_f32 v7, v51, v55 :: v_dual_and_b32 v8, 0xffff, v45
	v_dual_add_f32 v4, v15, v50 :: v_dual_add_f32 v5, v16, v51
	v_sub_f32_e32 v10, v51, v55
	v_fma_f32 v6, -0.5, v6, v15
	s_delay_alu instid0(VALU_DEP_4) | instskip(SKIP_2) | instid1(VALU_DEP_3)
	v_fma_f32 v7, -0.5, v7, v16
	v_mul_u32_u24_e32 v8, 0x5a, v8
	v_dual_add_f32 v4, v4, v54 :: v_dual_add_f32 v5, v5, v55
	v_fmamk_f32 v9, v11, 0xbf5db3d7, v7
	s_delay_alu instid0(VALU_DEP_3)
	v_add_lshl_u32 v13, v8, v47, 3
	v_fmamk_f32 v8, v10, 0x3f5db3d7, v6
	v_fmac_f32_e32 v6, 0xbf5db3d7, v10
	v_fmac_f32_e32 v7, 0x3f5db3d7, v11
	v_sub_f32_e32 v11, v62, v66
	ds_store_2addr_b64 v13, v[4:5], v[8:9] offset1:30
	v_add_f32_e32 v4, v52, v56
	ds_store_b64 v13, v[6:7] offset:480
	v_dual_add_f32 v5, v17, v52 :: v_dual_add_f32 v6, v18, v53
	v_add_f32_e32 v7, v53, v57
	v_fma_f32 v17, -0.5, v4, v17
	v_sub_f32_e32 v8, v53, v57
	s_delay_alu instid0(VALU_DEP_4) | instskip(SKIP_2) | instid1(VALU_DEP_2)
	v_dual_add_f32 v4, v5, v56 :: v_dual_add_f32 v5, v6, v57
	v_mad_u16 v6, 0x5a, v44, v46
	v_dual_fmac_f32 v18, -0.5, v7 :: v_dual_sub_f32 v9, v52, v56
	v_and_b32_e32 v10, 0xffff, v6
	v_fmamk_f32 v6, v8, 0x3f5db3d7, v17
	s_delay_alu instid0(VALU_DEP_3)
	v_fmamk_f32 v7, v9, 0xbf5db3d7, v18
	v_fmac_f32_e32 v17, 0xbf5db3d7, v8
	v_fmac_f32_e32 v18, 0x3f5db3d7, v9
	v_lshlrev_b32_e32 v10, 3, v10
	v_mad_u16 v8, 0x5a, v58, v60
	s_clause 0x1
	scratch_store_b32 off, v13, off offset:496
	scratch_store_b32 off, v10, off offset:492
	ds_store_2addr_b64 v10, v[4:5], v[6:7] offset1:30
	v_dual_add_f32 v4, v62, v66 :: v_dual_add_f32 v5, v63, v67
	v_add_f32_e32 v6, v24, v63
	ds_store_b64 v10, v[17:18] offset:480
	v_sub_f32_e32 v10, v63, v67
	v_fma_f32 v4, -0.5, v4, v23
	v_fma_f32 v5, -0.5, v5, v24
	v_dual_add_f32 v7, v6, v67 :: v_dual_add_f32 v6, v23, v62
	v_and_b32_e32 v13, 0xffff, v8
	s_delay_alu instid0(VALU_DEP_4) | instskip(NEXT) | instid1(VALU_DEP_4)
	v_fmamk_f32 v8, v10, 0x3f5db3d7, v4
	v_dual_fmamk_f32 v9, v11, 0xbf5db3d7, v5 :: v_dual_fmac_f32 v4, 0xbf5db3d7, v10
	s_delay_alu instid0(VALU_DEP_3)
	v_dual_add_f32 v6, v6, v66 :: v_dual_lshlrev_b32 v13, 3, v13
	v_fmac_f32_e32 v5, 0x3f5db3d7, v11
	v_sub_f32_e32 v11, v74, v78
	ds_store_2addr_b64 v13, v[6:7], v[8:9] offset1:30
	ds_store_b64 v13, v[4:5] offset:480
	v_add_f32_e32 v4, v64, v68
	v_mad_u16 v7, 0x5a, v59, v61
	v_add_f32_e32 v8, v65, v69
	v_add_f32_e32 v6, v25, v64
	v_sub_f32_e32 v9, v65, v69
	v_fma_f32 v25, -0.5, v4, v25
	v_add_f32_e32 v4, v26, v65
	v_fmac_f32_e32 v26, -0.5, v8
	v_sub_f32_e32 v8, v64, v68
	s_delay_alu instid0(VALU_DEP_3) | instskip(SKIP_2) | instid1(VALU_DEP_3)
	v_dual_add_f32 v5, v4, v69 :: v_dual_and_b32 v10, 0xffff, v7
	v_add_f32_e32 v4, v6, v68
	v_fmamk_f32 v6, v9, 0x3f5db3d7, v25
	v_dual_fmamk_f32 v7, v8, 0xbf5db3d7, v26 :: v_dual_lshlrev_b32 v10, 3, v10
	v_fmac_f32_e32 v25, 0xbf5db3d7, v9
	v_fmac_f32_e32 v26, 0x3f5db3d7, v8
	v_mad_u16 v8, 0x5a, v70, v72
	s_clause 0x1
	scratch_store_b32 off, v13, off offset:488
	scratch_store_b32 off, v10, off offset:484
	ds_store_2addr_b64 v10, v[4:5], v[6:7] offset1:30
	v_dual_add_f32 v7, v75, v79 :: v_dual_add_f32 v6, v74, v78
	ds_store_b64 v10, v[25:26] offset:480
	v_dual_add_f32 v4, v32, v74 :: v_dual_add_f32 v5, v33, v75
	v_sub_f32_e32 v10, v75, v79
	v_fma_f32 v6, -0.5, v6, v32
	v_fma_f32 v7, -0.5, v7, v33
	s_delay_alu instid0(VALU_DEP_4) | instskip(NEXT) | instid1(VALU_DEP_3)
	v_dual_add_f32 v4, v4, v78 :: v_dual_and_b32 v13, 0xffff, v8
	v_dual_add_f32 v5, v5, v79 :: v_dual_fmamk_f32 v8, v10, 0x3f5db3d7, v6
	s_delay_alu instid0(VALU_DEP_3) | instskip(NEXT) | instid1(VALU_DEP_3)
	v_fmamk_f32 v9, v11, 0xbf5db3d7, v7
	v_dual_fmac_f32 v6, 0xbf5db3d7, v10 :: v_dual_lshlrev_b32 v13, 3, v13
	v_fmac_f32_e32 v7, 0x3f5db3d7, v11
	v_sub_f32_e32 v11, v87, v91
	ds_store_2addr_b64 v13, v[4:5], v[8:9] offset1:30
	v_add_f32_e32 v4, v76, v81
	ds_store_b64 v13, v[6:7] offset:480
	v_mad_u16 v7, 0x5a, v71, v73
	v_add_f32_e32 v8, v77, v82
	v_add_f32_e32 v6, v34, v76
	v_fma_f32 v34, -0.5, v4, v34
	v_dual_add_f32 v4, v35, v77 :: v_dual_sub_f32 v9, v77, v82
	s_delay_alu instid0(VALU_DEP_4) | instskip(NEXT) | instid1(VALU_DEP_2)
	v_dual_fmac_f32 v35, -0.5, v8 :: v_dual_sub_f32 v8, v76, v81
	v_dual_add_f32 v5, v4, v82 :: v_dual_and_b32 v10, 0xffff, v7
	v_add_f32_e32 v4, v6, v81
	s_delay_alu instid0(VALU_DEP_4) | instskip(NEXT) | instid1(VALU_DEP_3)
	v_fmamk_f32 v6, v9, 0x3f5db3d7, v34
	v_dual_fmamk_f32 v7, v8, 0xbf5db3d7, v35 :: v_dual_lshlrev_b32 v10, 3, v10
	v_fmac_f32_e32 v34, 0xbf5db3d7, v9
	v_fmac_f32_e32 v35, 0x3f5db3d7, v8
	v_mad_u16 v8, 0x5a, v83, v85
	s_clause 0x1
	scratch_store_b32 off, v13, off offset:432
	scratch_store_b32 off, v10, off offset:428
	ds_store_2addr_b64 v10, v[4:5], v[6:7] offset1:30
	v_dual_add_f32 v7, v88, v92 :: v_dual_add_f32 v6, v87, v91
	ds_store_b64 v10, v[34:35] offset:480
	v_dual_add_f32 v4, v36, v87 :: v_dual_add_f32 v5, v37, v88
	v_sub_f32_e32 v10, v88, v92
	v_fma_f32 v6, -0.5, v6, v36
	v_fma_f32 v7, -0.5, v7, v37
	s_delay_alu instid0(VALU_DEP_4) | instskip(NEXT) | instid1(VALU_DEP_3)
	v_dual_add_f32 v4, v4, v91 :: v_dual_and_b32 v13, 0xffff, v8
	v_dual_add_f32 v5, v5, v92 :: v_dual_fmamk_f32 v8, v10, 0x3f5db3d7, v6
	s_delay_alu instid0(VALU_DEP_3) | instskip(NEXT) | instid1(VALU_DEP_3)
	v_fmamk_f32 v9, v11, 0xbf5db3d7, v7
	v_dual_fmac_f32 v6, 0xbf5db3d7, v10 :: v_dual_lshlrev_b32 v13, 3, v13
	v_fmac_f32_e32 v7, 0x3f5db3d7, v11
	v_mov_b32_e32 v35, v100
	ds_store_2addr_b64 v13, v[4:5], v[8:9] offset1:30
	v_add_f32_e32 v4, v89, v93
	ds_store_b64 v13, v[6:7] offset:480
	v_mad_u16 v7, 0x5a, v84, v86
	v_add_f32_e32 v8, v90, v94
	v_add_f32_e32 v6, v38, v89
	v_fma_f32 v38, -0.5, v4, v38
	v_add_f32_e32 v4, v39, v90
	v_sub_f32_e32 v9, v90, v94
	v_dual_fmac_f32 v39, -0.5, v8 :: v_dual_sub_f32 v8, v89, v93
	s_delay_alu instid0(VALU_DEP_3) | instskip(SKIP_1) | instid1(VALU_DEP_4)
	v_dual_add_f32 v5, v4, v94 :: v_dual_and_b32 v10, 0xffff, v7
	v_add_f32_e32 v4, v6, v93
	v_fmamk_f32 v6, v9, 0x3f5db3d7, v38
	s_delay_alu instid0(VALU_DEP_3)
	v_dual_fmamk_f32 v7, v8, 0xbf5db3d7, v39 :: v_dual_lshlrev_b32 v10, 3, v10
	v_fmac_f32_e32 v38, 0xbf5db3d7, v9
	v_fmac_f32_e32 v39, 0x3f5db3d7, v8
	s_clause 0x1
	scratch_store_b32 off, v13, off offset:424
	scratch_store_b32 off, v10, off offset:420
	ds_store_2addr_b64 v10, v[4:5], v[6:7] offset1:30
	v_add_co_u32 v4, s2, v100, -9
	s_delay_alu instid0(VALU_DEP_1)
	v_add_co_ci_u32_e64 v5, null, 0, -1, s2
	ds_store_b64 v10, v[38:39] offset:480
	v_cndmask_b32_e32 v4, v4, v0, vcc_lo
	s_waitcnt lgkmcnt(0)
	s_waitcnt_vscnt null, 0x0
	v_cndmask_b32_e32 v5, v5, v80, vcc_lo
	s_barrier
	buffer_gl0_inv
	scratch_store_b32 off, v35, off offset:248 ; 4-byte Folded Spill
	v_lshlrev_b32_e32 v0, 4, v0
	v_lshlrev_b64 v[5:6], 4, v[4:5]
	s_delay_alu instid0(VALU_DEP_1) | instskip(NEXT) | instid1(VALU_DEP_2)
	v_add_co_u32 v7, vcc_lo, s10, v5
	v_add_co_ci_u32_e32 v8, vcc_lo, s11, v6, vcc_lo
	v_lshlrev_b32_e32 v5, 4, v100
	s_clause 0x1
	global_load_b128 v[72:75], v[7:8], off offset:640
	global_load_b128 v[88:91], v5, s[10:11] offset:640
	ds_load_2addr_b64 v[6:9], v249 offset0:42 offset1:123
	v_cmp_lt_u16_e32 vcc_lo, 8, v20
	s_waitcnt vmcnt(1) lgkmcnt(0)
	v_mul_f32_e32 v39, v8, v73
	s_waitcnt vmcnt(0)
	v_mul_f32_e32 v10, v7, v89
	s_delay_alu instid0(VALU_DEP_2) | instskip(NEXT) | instid1(VALU_DEP_2)
	v_dual_mul_f32 v14, v6, v89 :: v_dual_fmac_f32 v39, v9, v72
	v_fma_f32 v13, v6, v88, -v10
	v_mul_f32_e32 v6, v9, v73
	s_delay_alu instid0(VALU_DEP_3) | instskip(NEXT) | instid1(VALU_DEP_2)
	v_fmac_f32_e32 v14, v7, v88
	v_fma_f32 v19, v8, v72, -v6
	ds_load_2addr_b64 v[6:9], v248 offset0:84 offset1:165
	s_waitcnt lgkmcnt(0)
	v_mul_f32_e32 v10, v7, v91
	v_mul_f32_e32 v16, v6, v91
	;; [unrolled: 1-line block ×3, first 2 shown]
	s_delay_alu instid0(VALU_DEP_3) | instskip(SKIP_1) | instid1(VALU_DEP_4)
	v_fma_f32 v15, v6, v90, -v10
	v_mul_f32_e32 v6, v9, v75
	v_fmac_f32_e32 v16, v7, v90
	v_mul_lo_u16 v7, 0xb7, v29
	v_fmac_f32_e32 v41, v9, v74
	v_sub_f32_e32 v211, v13, v15
	v_fma_f32 v40, v8, v74, -v6
	v_mul_u32_u24_e32 v6, 0x2d83, v28
	v_lshrrev_b16 v43, 14, v7
	v_sub_f32_e32 v210, v14, v16
	s_delay_alu instid0(VALU_DEP_3) | instskip(NEXT) | instid1(VALU_DEP_1)
	v_lshrrev_b32_e32 v42, 20, v6
	v_mul_lo_u16 v6, 0x5a, v42
	s_delay_alu instid0(VALU_DEP_1) | instskip(SKIP_1) | instid1(VALU_DEP_2)
	v_sub_nc_u16 v44, v96, v6
	v_mul_lo_u16 v6, 0x5a, v43
	v_lshlrev_b16 v7, 4, v44
	s_delay_alu instid0(VALU_DEP_2) | instskip(NEXT) | instid1(VALU_DEP_2)
	v_sub_nc_u16 v6, v1, v6
	v_and_b32_e32 v7, 0xffff, v7
	s_delay_alu instid0(VALU_DEP_2) | instskip(NEXT) | instid1(VALU_DEP_2)
	v_and_b32_e32 v45, 0xff, v6
	v_add_co_u32 v6, s2, s10, v7
	s_delay_alu instid0(VALU_DEP_1) | instskip(NEXT) | instid1(VALU_DEP_3)
	v_add_co_ci_u32_e64 v7, null, s11, 0, s2
	v_lshlrev_b32_e32 v8, 4, v45
	s_clause 0x1
	global_load_b128 v[64:67], v[6:7], off offset:640
	global_load_b128 v[84:87], v8, s[10:11] offset:640
	ds_load_2addr_b64 v[6:9], v253 offset0:76 offset1:157
	s_waitcnt vmcnt(1) lgkmcnt(0)
	v_mul_f32_e32 v51, v8, v65
	s_waitcnt vmcnt(0)
	v_mul_f32_e32 v10, v7, v85
	v_mul_f32_e32 v47, v6, v85
	s_delay_alu instid0(VALU_DEP_3) | instskip(NEXT) | instid1(VALU_DEP_3)
	v_fmac_f32_e32 v51, v9, v64
	v_fma_f32 v46, v6, v84, -v10
	s_delay_alu instid0(VALU_DEP_3) | instskip(NEXT) | instid1(VALU_DEP_1)
	v_dual_mul_f32 v6, v9, v65 :: v_dual_fmac_f32 v47, v7, v84
	v_fma_f32 v50, v8, v64, -v6
	ds_load_2addr_b64 v[6:9], v97 offset0:118 offset1:199
	s_waitcnt lgkmcnt(0)
	v_mul_f32_e32 v10, v7, v87
	v_mul_f32_e32 v57, v6, v87
	;; [unrolled: 1-line block ×3, first 2 shown]
	s_delay_alu instid0(VALU_DEP_3) | instskip(NEXT) | instid1(VALU_DEP_3)
	v_fma_f32 v56, v6, v86, -v10
	v_dual_mul_f32 v6, v9, v67 :: v_dual_fmac_f32 v57, v7, v86
	v_mul_u32_u24_e32 v7, 0x2d83, v31
	s_delay_alu instid0(VALU_DEP_4) | instskip(NEXT) | instid1(VALU_DEP_3)
	v_fmac_f32_e32 v59, v9, v66
	v_fma_f32 v58, v8, v66, -v6
	v_mul_u32_u24_e32 v6, 0x2d83, v30
	s_delay_alu instid0(VALU_DEP_4) | instskip(NEXT) | instid1(VALU_DEP_2)
	v_lshrrev_b32_e32 v93, 20, v7
	v_lshrrev_b32_e32 v92, 20, v6
	s_delay_alu instid0(VALU_DEP_1) | instskip(NEXT) | instid1(VALU_DEP_1)
	v_mul_lo_u16 v6, 0x5a, v92
	v_sub_nc_u16 v94, v105, v6
	s_delay_alu instid0(VALU_DEP_4) | instskip(NEXT) | instid1(VALU_DEP_1)
	v_mul_lo_u16 v6, 0x5a, v93
	v_sub_nc_u16 v95, v104, v6
	s_delay_alu instid0(VALU_DEP_3) | instskip(NEXT) | instid1(VALU_DEP_2)
	v_lshlrev_b16 v6, 4, v94
	v_lshlrev_b16 v7, 4, v95
	s_delay_alu instid0(VALU_DEP_2) | instskip(NEXT) | instid1(VALU_DEP_2)
	v_and_b32_e32 v6, 0xffff, v6
	v_and_b32_e32 v8, 0xffff, v7
	s_delay_alu instid0(VALU_DEP_2) | instskip(NEXT) | instid1(VALU_DEP_1)
	v_add_co_u32 v6, s2, s10, v6
	v_add_co_ci_u32_e64 v7, null, s11, 0, s2
	s_delay_alu instid0(VALU_DEP_3) | instskip(NEXT) | instid1(VALU_DEP_1)
	v_add_co_u32 v8, s2, s10, v8
	v_add_co_ci_u32_e64 v9, null, s11, 0, s2
	s_clause 0x1
	global_load_b128 v[80:83], v[6:7], off offset:640
	global_load_b128 v[60:63], v[8:9], off offset:640
	ds_load_2addr_b64 v[6:9], v250 offset0:110 offset1:191
	s_waitcnt vmcnt(1) lgkmcnt(0)
	v_mul_f32_e32 v10, v7, v81
	v_mul_f32_e32 v98, v6, v81
	s_waitcnt vmcnt(0)
	v_mul_f32_e32 v100, v8, v61
	s_delay_alu instid0(VALU_DEP_3) | instskip(SKIP_2) | instid1(VALU_DEP_4)
	v_fma_f32 v97, v6, v80, -v10
	v_mul_f32_e32 v6, v9, v61
	v_fmac_f32_e32 v98, v7, v80
	v_fmac_f32_e32 v100, v9, v60
	s_delay_alu instid0(VALU_DEP_3)
	v_fma_f32 v99, v8, v60, -v6
	ds_load_2addr_b64 v[6:9], v233 offset0:152 offset1:233
	s_waitcnt lgkmcnt(0)
	v_mul_f32_e32 v10, v7, v83
	v_mul_f32_e32 v102, v6, v83
	;; [unrolled: 1-line block ×3, first 2 shown]
	s_delay_alu instid0(VALU_DEP_3) | instskip(SKIP_1) | instid1(VALU_DEP_4)
	v_fma_f32 v101, v6, v82, -v10
	v_mul_f32_e32 v6, v9, v63
	v_fmac_f32_e32 v102, v7, v82
	s_delay_alu instid0(VALU_DEP_4) | instskip(NEXT) | instid1(VALU_DEP_3)
	v_fmac_f32_e32 v106, v9, v62
	v_fma_f32 v103, v8, v62, -v6
	v_mul_u32_u24_e32 v6, 0x2d83, v2
	v_mul_u32_u24_e32 v2, 0x795d, v2
	s_delay_alu instid0(VALU_DEP_2) | instskip(SKIP_1) | instid1(VALU_DEP_1)
	v_lshrrev_b32_e32 v107, 20, v6
	v_mul_u32_u24_e32 v6, 0x2d83, v3
	v_lshrrev_b32_e32 v112, 20, v6
	s_delay_alu instid0(VALU_DEP_3) | instskip(NEXT) | instid1(VALU_DEP_1)
	v_mul_lo_u16 v6, 0x5a, v107
	v_sub_nc_u16 v113, v109, v6
	s_delay_alu instid0(VALU_DEP_3) | instskip(NEXT) | instid1(VALU_DEP_1)
	v_mul_lo_u16 v6, 0x5a, v112
	v_sub_nc_u16 v114, v108, v6
	s_delay_alu instid0(VALU_DEP_3) | instskip(NEXT) | instid1(VALU_DEP_2)
	v_lshlrev_b16 v6, 4, v113
	v_lshlrev_b16 v7, 4, v114
	s_delay_alu instid0(VALU_DEP_2) | instskip(NEXT) | instid1(VALU_DEP_2)
	v_and_b32_e32 v6, 0xffff, v6
	v_and_b32_e32 v8, 0xffff, v7
	s_delay_alu instid0(VALU_DEP_2) | instskip(NEXT) | instid1(VALU_DEP_1)
	v_add_co_u32 v6, s2, s10, v6
	v_add_co_ci_u32_e64 v7, null, s11, 0, s2
	s_delay_alu instid0(VALU_DEP_3) | instskip(NEXT) | instid1(VALU_DEP_1)
	v_add_co_u32 v8, s2, s10, v8
	v_add_co_ci_u32_e64 v9, null, s11, 0, s2
	s_clause 0x1
	global_load_b128 v[76:79], v[6:7], off offset:640
	global_load_b128 v[52:55], v[8:9], off offset:640
	ds_load_2addr_b64 v[6:9], v251 offset0:16 offset1:97
	s_waitcnt vmcnt(1) lgkmcnt(0)
	v_mul_f32_e32 v10, v7, v77
	v_mul_f32_e32 v116, v6, v77
	s_waitcnt vmcnt(0)
	v_mul_f32_e32 v118, v8, v53
	s_delay_alu instid0(VALU_DEP_3) | instskip(SKIP_2) | instid1(VALU_DEP_4)
	v_fma_f32 v115, v6, v76, -v10
	v_mul_f32_e32 v6, v9, v53
	v_fmac_f32_e32 v116, v7, v76
	v_fmac_f32_e32 v118, v9, v52
	s_delay_alu instid0(VALU_DEP_3)
	v_fma_f32 v117, v8, v52, -v6
	ds_load_2addr_b64 v[6:9], v252 offset0:58 offset1:139
	s_waitcnt lgkmcnt(0)
	v_mul_f32_e32 v10, v7, v79
	v_mul_f32_e32 v120, v6, v79
	;; [unrolled: 1-line block ×3, first 2 shown]
	s_delay_alu instid0(VALU_DEP_3) | instskip(SKIP_1) | instid1(VALU_DEP_4)
	v_fma_f32 v119, v6, v78, -v10
	v_mul_f32_e32 v6, v9, v55
	v_fmac_f32_e32 v120, v7, v78
	v_mul_u32_u24_e32 v7, 0x2d83, v21
	v_fmac_f32_e32 v122, v9, v54
	s_delay_alu instid0(VALU_DEP_4) | instskip(SKIP_1) | instid1(VALU_DEP_4)
	v_fma_f32 v121, v8, v54, -v6
	v_mul_u32_u24_e32 v6, 0x2d83, v22
	v_lshrrev_b32_e32 v123, 20, v7
	s_delay_alu instid0(VALU_DEP_2) | instskip(NEXT) | instid1(VALU_DEP_2)
	v_lshrrev_b32_e32 v6, 20, v6
	v_mul_lo_u16 v7, 0x5a, v123
	s_delay_alu instid0(VALU_DEP_2) | instskip(NEXT) | instid1(VALU_DEP_2)
	v_mul_lo_u16 v6, 0x5a, v6
	v_sub_nc_u16 v124, v111, v7
	s_delay_alu instid0(VALU_DEP_2) | instskip(NEXT) | instid1(VALU_DEP_2)
	v_sub_nc_u16 v125, v110, v6
	v_lshlrev_b16 v6, 4, v124
	s_delay_alu instid0(VALU_DEP_2) | instskip(NEXT) | instid1(VALU_DEP_2)
	v_lshlrev_b16 v7, 4, v125
	v_and_b32_e32 v6, 0xffff, v6
	s_delay_alu instid0(VALU_DEP_2) | instskip(NEXT) | instid1(VALU_DEP_2)
	v_and_b32_e32 v8, 0xffff, v7
	v_add_co_u32 v6, s2, s10, v6
	s_delay_alu instid0(VALU_DEP_1) | instskip(NEXT) | instid1(VALU_DEP_3)
	v_add_co_ci_u32_e64 v7, null, s11, 0, s2
	v_add_co_u32 v8, s2, s10, v8
	s_delay_alu instid0(VALU_DEP_1)
	v_add_co_ci_u32_e64 v9, null, s11, 0, s2
	s_clause 0x1
	global_load_b128 v[68:71], v[6:7], off offset:640
	global_load_b128 v[236:239], v[8:9], off offset:640
	ds_load_2addr_b64 v[6:9], v255 offset0:50 offset1:131
	s_waitcnt vmcnt(1) lgkmcnt(0)
	v_mul_f32_e32 v10, v7, v69
	v_mul_f32_e32 v127, v6, v69
	s_waitcnt vmcnt(0)
	v_mul_f32_e32 v205, v8, v237
	s_delay_alu instid0(VALU_DEP_3) | instskip(NEXT) | instid1(VALU_DEP_3)
	v_fma_f32 v126, v6, v68, -v10
	v_dual_mul_f32 v6, v9, v237 :: v_dual_fmac_f32 v127, v7, v68
	s_delay_alu instid0(VALU_DEP_3) | instskip(NEXT) | instid1(VALU_DEP_2)
	v_fmac_f32_e32 v205, v9, v236
	v_fma_f32 v204, v8, v236, -v6
	ds_load_2addr_b64 v[6:9], v49 offset0:92 offset1:173
	s_waitcnt lgkmcnt(0)
	v_mul_f32_e32 v10, v7, v71
	v_mul_f32_e32 v207, v6, v71
	;; [unrolled: 1-line block ×3, first 2 shown]
	s_delay_alu instid0(VALU_DEP_3) | instskip(NEXT) | instid1(VALU_DEP_3)
	v_fma_f32 v206, v6, v70, -v10
	v_dual_mul_f32 v6, v9, v239 :: v_dual_fmac_f32 v207, v7, v70
	s_delay_alu instid0(VALU_DEP_3) | instskip(NEXT) | instid1(VALU_DEP_2)
	v_fmac_f32_e32 v209, v9, v238
	v_fma_f32 v208, v8, v238, -v6
	ds_load_2addr_b64 v[6:9], v48 offset1:81
	s_waitcnt lgkmcnt(0)
	v_dual_add_f32 v11, v7, v14 :: v_dual_add_f32 v14, v14, v16
	s_delay_alu instid0(VALU_DEP_1) | instskip(SKIP_1) | instid1(VALU_DEP_3)
	v_dual_add_f32 v10, v6, v13 :: v_dual_add_f32 v11, v11, v16
	v_add_f32_e32 v16, v13, v15
	v_fma_f32 v7, -0.5, v14, v7
	s_delay_alu instid0(VALU_DEP_3) | instskip(NEXT) | instid1(VALU_DEP_3)
	v_add_f32_e32 v10, v10, v15
	v_fma_f32 v6, -0.5, v16, v6
	s_delay_alu instid0(VALU_DEP_3)
	v_fmamk_f32 v14, v211, 0xbf5db3d7, v7
	v_fmac_f32_e32 v7, 0x3f5db3d7, v211
	ds_load_2addr_b64 v[15:18], v48 offset0:162 offset1:243
	ds_load_2addr_b64 v[23:26], v254 offset0:68 offset1:149
	;; [unrolled: 1-line block ×4, first 2 shown]
	s_waitcnt lgkmcnt(0)
	s_waitcnt_vscnt null, 0x0
	v_fmamk_f32 v13, v210, 0x3f5db3d7, v6
	v_fmac_f32_e32 v6, 0xbf5db3d7, v210
	s_barrier
	buffer_gl0_inv
	ds_store_2addr_b64 v48, v[10:11], v[13:14] offset1:90
	ds_store_b64 v48, v[6:7] offset:1440
	v_cndmask_b32_e64 v6, 0, 0x10e, vcc_lo
	v_sub_f32_e32 v13, v39, v41
	v_cmp_gt_u16_e32 vcc_lo, 27, v20
	s_delay_alu instid0(VALU_DEP_3)
	v_add_lshl_u32 v14, v4, v6, 3
	v_add_f32_e32 v4, v19, v40
	v_add_f32_e32 v6, v8, v19
	scratch_store_b32 off, v14, off offset:336 ; 4-byte Folded Spill
	v_fma_f32 v8, -0.5, v4, v8
	v_add_f32_e32 v4, v9, v39
	v_add_f32_e32 v6, v6, v40
	s_delay_alu instid0(VALU_DEP_2) | instskip(SKIP_2) | instid1(VALU_DEP_2)
	v_dual_fmamk_f32 v10, v13, 0x3f5db3d7, v8 :: v_dual_add_f32 v7, v4, v41
	v_add_f32_e32 v4, v39, v41
	v_dual_fmac_f32 v8, 0xbf5db3d7, v13 :: v_dual_sub_f32 v13, v46, v56
	v_fmac_f32_e32 v9, -0.5, v4
	v_sub_f32_e32 v4, v19, v40
	s_delay_alu instid0(VALU_DEP_1)
	v_fmamk_f32 v11, v4, 0xbf5db3d7, v9
	v_dual_fmac_f32 v9, 0x3f5db3d7, v4 :: v_dual_add_f32 v4, v15, v46
	ds_store_2addr_b64 v14, v[6:7], v[10:11] offset1:90
	ds_store_b64 v14, v[8:9] offset:1440
	v_dual_add_f32 v9, v47, v57 :: v_dual_add_f32 v8, v46, v56
	v_and_b32_e32 v10, 0xffff, v43
	v_add_f32_e32 v7, v16, v47
	v_add_f32_e32 v6, v4, v56
	v_sub_f32_e32 v4, v47, v57
	v_fma_f32 v8, -0.5, v8, v15
	v_fma_f32 v9, -0.5, v9, v16
	v_mul_u32_u24_e32 v10, 0x10e, v10
	v_add_f32_e32 v7, v7, v57
	s_delay_alu instid0(VALU_DEP_3) | instskip(NEXT) | instid1(VALU_DEP_3)
	v_fmamk_f32 v11, v13, 0xbf5db3d7, v9
	v_add_lshl_u32 v14, v10, v45, 3
	v_fmamk_f32 v10, v4, 0x3f5db3d7, v8
	v_fmac_f32_e32 v8, 0xbf5db3d7, v4
	v_dual_add_f32 v4, v50, v58 :: v_dual_fmac_f32 v9, 0x3f5db3d7, v13
	v_sub_f32_e32 v13, v97, v101
	ds_store_2addr_b64 v14, v[6:7], v[10:11] offset1:90
	v_add_f32_e32 v6, v17, v50
	v_fma_f32 v17, -0.5, v4, v17
	v_add_f32_e32 v4, v18, v51
	ds_store_b64 v14, v[8:9] offset:1440
	v_add_f32_e32 v8, v51, v59
	v_dual_sub_f32 v10, v51, v59 :: v_dual_sub_f32 v11, v50, v58
	v_add_f32_e32 v7, v4, v59
	v_mad_u16 v4, 0x10e, v42, v44
	s_delay_alu instid0(VALU_DEP_4)
	v_fmac_f32_e32 v18, -0.5, v8
	v_add_f32_e32 v6, v6, v58
	v_fmamk_f32 v8, v10, 0x3f5db3d7, v17
	v_fmac_f32_e32 v17, 0xbf5db3d7, v10
	v_and_b32_e32 v4, 0xffff, v4
	v_fmamk_f32 v9, v11, 0xbf5db3d7, v18
	v_fmac_f32_e32 v18, 0x3f5db3d7, v11
	v_mad_u16 v10, 0x10e, v92, v94
	s_delay_alu instid0(VALU_DEP_4)
	v_lshlrev_b32_e32 v4, 3, v4
	scratch_store_b32 off, v14, off offset:332 ; 4-byte Folded Spill
	v_and_b32_e32 v14, 0xffff, v10
	scratch_store_b32 off, v4, off offset:328 ; 4-byte Folded Spill
	ds_store_2addr_b64 v4, v[6:7], v[8:9] offset1:90
	ds_store_b64 v4, v[17:18] offset:1440
	v_dual_add_f32 v4, v23, v97 :: v_dual_add_f32 v9, v98, v102
	v_dual_add_f32 v8, v97, v101 :: v_dual_add_f32 v7, v24, v98
	v_lshlrev_b32_e32 v14, 3, v14
	s_delay_alu instid0(VALU_DEP_3) | instskip(SKIP_1) | instid1(VALU_DEP_4)
	v_add_f32_e32 v6, v4, v101
	v_sub_f32_e32 v4, v98, v102
	v_fma_f32 v8, -0.5, v8, v23
	v_fma_f32 v9, -0.5, v9, v24
	v_add_f32_e32 v7, v7, v102
	s_delay_alu instid0(VALU_DEP_3) | instskip(NEXT) | instid1(VALU_DEP_3)
	v_dual_fmamk_f32 v10, v4, 0x3f5db3d7, v8 :: v_dual_lshlrev_b32 v97, 4, v1
	v_dual_fmamk_f32 v11, v13, 0xbf5db3d7, v9 :: v_dual_fmac_f32 v8, 0xbf5db3d7, v4
	v_dual_add_f32 v4, v99, v103 :: v_dual_fmac_f32 v9, 0x3f5db3d7, v13
	v_sub_f32_e32 v13, v115, v119
	ds_store_2addr_b64 v14, v[6:7], v[10:11] offset1:90
	v_add_f32_e32 v6, v25, v99
	v_fma_f32 v25, -0.5, v4, v25
	v_add_f32_e32 v4, v26, v100
	ds_store_b64 v14, v[8:9] offset:1440
	v_add_f32_e32 v8, v100, v106
	v_dual_sub_f32 v10, v100, v106 :: v_dual_sub_f32 v11, v99, v103
	v_add_f32_e32 v7, v4, v106
	v_mad_u16 v4, 0x10e, v93, v95
	s_delay_alu instid0(VALU_DEP_4)
	v_fmac_f32_e32 v26, -0.5, v8
	v_add_f32_e32 v6, v6, v103
	v_fmamk_f32 v8, v10, 0x3f5db3d7, v25
	v_fmac_f32_e32 v25, 0xbf5db3d7, v10
	v_and_b32_e32 v4, 0xffff, v4
	v_fmamk_f32 v9, v11, 0xbf5db3d7, v26
	v_fmac_f32_e32 v26, 0x3f5db3d7, v11
	v_mad_u16 v10, 0x10e, v107, v113
	s_delay_alu instid0(VALU_DEP_4)
	v_lshlrev_b32_e32 v4, 3, v4
	scratch_store_b32 off, v14, off offset:320 ; 4-byte Folded Spill
	v_and_b32_e32 v14, 0xffff, v10
	scratch_store_b32 off, v4, off offset:316 ; 4-byte Folded Spill
	ds_store_2addr_b64 v4, v[6:7], v[8:9] offset1:90
	ds_store_b64 v4, v[25:26] offset:1440
	v_dual_add_f32 v4, v27, v115 :: v_dual_add_f32 v9, v116, v120
	v_dual_add_f32 v8, v115, v119 :: v_dual_add_f32 v7, v28, v116
	v_lshlrev_b32_e32 v14, 3, v14
	s_delay_alu instid0(VALU_DEP_3) | instskip(SKIP_1) | instid1(VALU_DEP_4)
	v_add_f32_e32 v6, v4, v119
	v_sub_f32_e32 v4, v116, v120
	v_fma_f32 v8, -0.5, v8, v27
	v_fma_f32 v9, -0.5, v9, v28
	s_delay_alu instid0(VALU_DEP_2) | instskip(NEXT) | instid1(VALU_DEP_2)
	v_dual_add_f32 v7, v7, v120 :: v_dual_fmamk_f32 v10, v4, 0x3f5db3d7, v8
	v_dual_fmamk_f32 v11, v13, 0xbf5db3d7, v9 :: v_dual_fmac_f32 v8, 0xbf5db3d7, v4
	v_add_f32_e32 v4, v117, v121
	v_fmac_f32_e32 v9, 0x3f5db3d7, v13
	v_sub_f32_e32 v13, v126, v206
	ds_store_2addr_b64 v14, v[6:7], v[10:11] offset1:90
	v_add_f32_e32 v6, v29, v117
	v_fma_f32 v29, -0.5, v4, v29
	v_add_f32_e32 v4, v30, v118
	ds_store_b64 v14, v[8:9] offset:1440
	v_add_f32_e32 v8, v118, v122
	v_dual_sub_f32 v10, v118, v122 :: v_dual_sub_f32 v11, v117, v121
	v_add_f32_e32 v7, v4, v122
	v_mad_u16 v4, 0x10e, v112, v114
	s_delay_alu instid0(VALU_DEP_4)
	v_fmac_f32_e32 v30, -0.5, v8
	v_add_f32_e32 v6, v6, v121
	v_fmamk_f32 v8, v10, 0x3f5db3d7, v29
	v_fmac_f32_e32 v29, 0xbf5db3d7, v10
	v_and_b32_e32 v4, 0xffff, v4
	v_fmamk_f32 v9, v11, 0xbf5db3d7, v30
	v_fmac_f32_e32 v30, 0x3f5db3d7, v11
	v_mad_u16 v10, 0x10e, v123, v124
	s_delay_alu instid0(VALU_DEP_4)
	v_lshlrev_b32_e32 v4, 3, v4
	scratch_store_b32 off, v14, off offset:312 ; 4-byte Folded Spill
	v_and_b32_e32 v14, 0xffff, v10
	scratch_store_b32 off, v4, off offset:308 ; 4-byte Folded Spill
	ds_store_2addr_b64 v4, v[6:7], v[8:9] offset1:90
	ds_store_b64 v4, v[29:30] offset:1440
	v_add_f32_e32 v4, v31, v126
	v_dual_add_f32 v9, v127, v207 :: v_dual_add_f32 v8, v126, v206
	v_dual_add_f32 v7, v32, v127 :: v_dual_lshlrev_b32 v14, 3, v14
	s_delay_alu instid0(VALU_DEP_3) | instskip(SKIP_1) | instid1(VALU_DEP_4)
	v_add_f32_e32 v6, v4, v206
	v_sub_f32_e32 v4, v127, v207
	v_fma_f32 v8, -0.5, v8, v31
	v_fma_f32 v9, -0.5, v9, v32
	s_delay_alu instid0(VALU_DEP_2) | instskip(NEXT) | instid1(VALU_DEP_2)
	v_dual_add_f32 v7, v7, v207 :: v_dual_fmamk_f32 v10, v4, 0x3f5db3d7, v8
	v_dual_fmamk_f32 v11, v13, 0xbf5db3d7, v9 :: v_dual_fmac_f32 v8, 0xbf5db3d7, v4
	v_dual_add_f32 v4, v204, v208 :: v_dual_fmac_f32 v9, 0x3f5db3d7, v13
	ds_store_2addr_b64 v14, v[6:7], v[10:11] offset1:90
	v_add_f32_e32 v6, v33, v204
	v_fma_f32 v33, -0.5, v4, v33
	v_add_f32_e32 v4, v34, v205
	ds_store_b64 v14, v[8:9] offset:1440
	v_and_b32_e32 v8, 0xffff, v125
	v_sub_f32_e32 v10, v205, v209
	v_dual_add_f32 v6, v6, v208 :: v_dual_add_f32 v7, v4, v209
	s_delay_alu instid0(VALU_DEP_3) | instskip(NEXT) | instid1(VALU_DEP_3)
	v_dual_add_f32 v4, v205, v209 :: v_dual_lshlrev_b32 v11, 3, v8
	v_fmamk_f32 v8, v10, 0x3f5db3d7, v33
	v_dual_fmac_f32 v33, 0xbf5db3d7, v10 :: v_dual_mov_b32 v106, v212
	s_delay_alu instid0(VALU_DEP_3) | instskip(NEXT) | instid1(VALU_DEP_4)
	v_fmac_f32_e32 v34, -0.5, v4
	v_dual_sub_f32 v4, v204, v208 :: v_dual_add_nc_u32 v13, 0x4000, v11
	s_clause 0x1
	scratch_store_b32 off, v11, off offset:296
	scratch_store_b32 off, v14, off offset:304
	v_fmamk_f32 v9, v4, 0xbf5db3d7, v34
	scratch_store_b32 off, v13, off offset:300 ; 4-byte Folded Spill
	v_fmac_f32_e32 v34, 0x3f5db3d7, v4
	ds_store_2addr_b64 v13, v[6:7], v[8:9] offset0:112 offset1:202
	ds_store_b64 v11, v[33:34] offset:18720
	s_waitcnt lgkmcnt(0)
	s_waitcnt_vscnt null, 0x0
	s_barrier
	buffer_gl0_inv
	s_clause 0x1
	global_load_b128 v[13:16], v5, s[10:11] offset:2080
	global_load_b128 v[36:39], v0, s[10:11] offset:2080
	ds_load_2addr_b64 v[6:9], v249 offset0:42 offset1:123
	s_clause 0x1
	global_load_b128 v[40:43], v5, s[10:11] offset:2944
	global_load_b128 v[28:31], v97, s[10:11] offset:2080
	s_waitcnt vmcnt(3) lgkmcnt(0)
	v_dual_mul_f32 v4, v7, v14 :: v_dual_mov_b32 v17, v16
	v_mov_b32_e32 v16, v15
	v_mov_b32_e32 v15, v14
	v_mov_b32_e32 v14, v13
	s_delay_alu instid0(VALU_DEP_4)
	v_fma_f32 v4, v6, v13, -v4
	s_waitcnt vmcnt(2)
	v_mul_f32_e32 v1, v9, v37
	v_dual_mul_f32 v26, v8, v37 :: v_dual_mul_f32 v13, v6, v15
	s_clause 0x1
	scratch_store_b128 off, v[14:17], off offset:404
	scratch_store_b128 off, v[36:39], off offset:388
	v_fma_f32 v25, v8, v36, -v1
	v_dual_fmac_f32 v26, v9, v36 :: v_dual_fmac_f32 v13, v7, v14
	ds_load_2addr_b64 v[6:9], v248 offset0:84 offset1:165
	s_waitcnt lgkmcnt(0)
	v_mul_f32_e32 v1, v7, v17
	v_mul_f32_e32 v18, v6, v17
	;; [unrolled: 1-line block ×3, first 2 shown]
	s_delay_alu instid0(VALU_DEP_3) | instskip(SKIP_1) | instid1(VALU_DEP_4)
	v_fma_f32 v1, v6, v16, -v1
	v_mul_f32_e32 v6, v9, v39
	v_fmac_f32_e32 v18, v7, v16
	s_delay_alu instid0(VALU_DEP_4) | instskip(NEXT) | instid1(VALU_DEP_3)
	v_fmac_f32_e32 v32, v9, v38
	v_fma_f32 v27, v8, v38, -v6
	v_add_co_u32 v6, s2, 0xffffffe5, v35
	s_delay_alu instid0(VALU_DEP_1) | instskip(NEXT) | instid1(VALU_DEP_2)
	v_add_co_ci_u32_e64 v7, null, 0, -1, s2
	v_cndmask_b32_e32 v10, v6, v96, vcc_lo
	s_delay_alu instid0(VALU_DEP_2) | instskip(NEXT) | instid1(VALU_DEP_1)
	v_cndmask_b32_e32 v11, v7, v12, vcc_lo
	v_lshlrev_b64 v[6:7], 4, v[10:11]
	s_delay_alu instid0(VALU_DEP_1) | instskip(NEXT) | instid1(VALU_DEP_2)
	v_add_co_u32 v14, vcc_lo, s10, v6
	v_add_co_ci_u32_e32 v15, vcc_lo, s11, v7, vcc_lo
	ds_load_2addr_b64 v[6:9], v48 offset1:81
	s_waitcnt lgkmcnt(0)
	v_dual_add_f32 v12, v7, v13 :: v_dual_add_f32 v11, v6, v4
	s_delay_alu instid0(VALU_DEP_1) | instskip(SKIP_1) | instid1(VALU_DEP_3)
	v_add_f32_e32 v17, v12, v18
	v_add_f32_e32 v12, v13, v18
	v_dual_add_f32 v16, v11, v1 :: v_dual_sub_f32 v11, v13, v18
	v_add_f32_e32 v13, v4, v1
	v_sub_f32_e32 v1, v4, v1
	v_add_co_u32 v4, s2, s10, v5
	v_fma_f32 v7, -0.5, v12, v7
	v_add_co_ci_u32_e64 v5, null, s11, 0, s2
	s_delay_alu instid0(VALU_DEP_3) | instskip(SKIP_1) | instid1(VALU_DEP_3)
	v_add_co_u32 v12, vcc_lo, 0x1000, v4
	v_fma_f32 v6, -0.5, v13, v6
	v_add_co_ci_u32_e32 v13, vcc_lo, 0, v5, vcc_lo
	v_fmamk_f32 v5, v1, 0xbf5db3d7, v7
	v_fmac_f32_e32 v7, 0x3f5db3d7, v1
	v_mul_u32_u24_e32 v1, 0x795d, v3
	v_fmamk_f32 v4, v11, 0x3f5db3d7, v6
	v_fmac_f32_e32 v6, 0xbf5db3d7, v11
	v_lshrrev_b32_e32 v11, 23, v2
	v_mul_u32_u24_e32 v3, 0x795d, v22
	v_lshrrev_b32_e32 v1, 23, v1
	v_cmp_lt_u16_e32 vcc_lo, 26, v20
	s_delay_alu instid0(VALU_DEP_4) | instskip(NEXT) | instid1(VALU_DEP_4)
	v_mul_lo_u16 v2, 0x10e, v11
	v_lshrrev_b32_e32 v3, 23, v3
	s_delay_alu instid0(VALU_DEP_4) | instskip(NEXT) | instid1(VALU_DEP_3)
	v_mul_lo_u16 v1, 0x10e, v1
	v_sub_nc_u16 v33, v109, v2
	s_delay_alu instid0(VALU_DEP_3) | instskip(NEXT) | instid1(VALU_DEP_3)
	v_mul_lo_u16 v3, 0x10e, v3
	v_sub_nc_u16 v34, v108, v1
	v_mul_u32_u24_e32 v1, 0x795d, v21
	s_delay_alu instid0(VALU_DEP_4) | instskip(NEXT) | instid1(VALU_DEP_4)
	v_lshlrev_b16 v2, 4, v33
	v_sub_nc_u16 v50, v110, v3
	s_delay_alu instid0(VALU_DEP_4) | instskip(NEXT) | instid1(VALU_DEP_4)
	v_lshlrev_b16 v18, 4, v34
	v_lshrrev_b32_e32 v1, 23, v1
	s_delay_alu instid0(VALU_DEP_4) | instskip(NEXT) | instid1(VALU_DEP_4)
	v_and_b32_e32 v2, 0xffff, v2
	v_lshlrev_b16 v21, 4, v50
	s_delay_alu instid0(VALU_DEP_4) | instskip(NEXT) | instid1(VALU_DEP_4)
	v_and_b32_e32 v18, 0xffff, v18
	v_mul_lo_u16 v19, 0x10e, v1
	s_delay_alu instid0(VALU_DEP_4) | instskip(NEXT) | instid1(VALU_DEP_4)
	v_add_co_u32 v1, s2, s10, v2
	v_and_b32_e32 v23, 0xffff, v21
	s_delay_alu instid0(VALU_DEP_3) | instskip(SKIP_2) | instid1(VALU_DEP_3)
	v_sub_nc_u16 v39, v111, v19
	v_add_co_ci_u32_e64 v2, null, s11, 0, s2
	v_add_co_u32 v18, s2, s10, v18
	v_lshlrev_b16 v3, 4, v39
	v_add_co_ci_u32_e64 v19, null, s11, 0, s2
	s_delay_alu instid0(VALU_DEP_2) | instskip(NEXT) | instid1(VALU_DEP_1)
	v_and_b32_e32 v3, 0xffff, v3
	v_add_co_u32 v21, s2, s10, v3
	s_delay_alu instid0(VALU_DEP_1) | instskip(SKIP_1) | instid1(VALU_DEP_1)
	v_add_co_ci_u32_e64 v22, null, s11, 0, s2
	v_add_co_u32 v23, s2, s10, v23
	v_add_co_ci_u32_e64 v24, null, s11, 0, s2
	s_clause 0x5
	global_load_b128 v[92:95], v[14:15], off offset:2080
	global_load_b128 v[44:47], v[1:2], off offset:2080
	;; [unrolled: 1-line block ×6, first 2 shown]
	ds_load_2addr_b64 v[98:101], v48 offset0:162 offset1:243
	ds_load_2addr_b64 v[112:115], v253 offset0:76 offset1:157
	v_dual_add_f32 v1, v8, v25 :: v_dual_add_f32 v2, v9, v26
	ds_load_2addr_b64 v[116:119], v212 offset0:118 offset1:199
	ds_load_2addr_b64 v[120:123], v254 offset0:68 offset1:149
	;; [unrolled: 1-line block ×7, first 2 shown]
	v_mov_b32_e32 v18, v220
	ds_load_2addr_b64 v[220:223], v220 offset0:136 offset1:217
	ds_load_2addr_b64 v[224:227], v255 offset0:50 offset1:131
	;; [unrolled: 1-line block ×3, first 2 shown]
	v_dual_add_f32 v1, v1, v27 :: v_dual_add_f32 v2, v2, v32
	s_waitcnt vmcnt(0) lgkmcnt(0)
	s_waitcnt_vscnt null, 0x0
	s_barrier
	buffer_gl0_inv
	ds_store_b64 v48, v[4:5] offset:2160
	ds_store_b64 v48, v[6:7] offset:4320
	ds_store_2addr_b64 v48, v[16:17], v[1:2] offset1:81
	v_add_f32_e32 v7, v26, v32
	scratch_store_b128 off, v[40:43], off offset:452 ; 16-byte Folded Spill
	v_add_co_u32 v0, s2, s10, v0
	v_mul_f32_e32 v4, v116, v31
	v_fmac_f32_e32 v9, -0.5, v7
	v_sub_f32_e32 v7, v25, v27
	v_mul_f32_e32 v1, v113, v29
	s_delay_alu instid0(VALU_DEP_4) | instskip(SKIP_1) | instid1(VALU_DEP_3)
	v_dual_mul_f32 v3, v112, v29 :: v_dual_fmac_f32 v4, v117, v30
	v_mul_f32_e32 v17, v205, v43
	v_fma_f32 v5, v112, v28, -v1
	s_delay_alu instid0(VALU_DEP_3) | instskip(SKIP_1) | instid1(VALU_DEP_4)
	v_fmac_f32_e32 v3, v113, v28
	v_mul_f32_e32 v1, v117, v31
	v_fma_f32 v17, v204, v42, -v17
	s_delay_alu instid0(VALU_DEP_3) | instskip(NEXT) | instid1(VALU_DEP_3)
	v_add_f32_e32 v2, v99, v3
	v_fma_f32 v6, v116, v30, -v1
	v_dual_add_f32 v1, v98, v5 :: v_dual_sub_f32 v14, v3, v4
	s_delay_alu instid0(VALU_DEP_2) | instskip(NEXT) | instid1(VALU_DEP_2)
	v_dual_add_f32 v2, v2, v4 :: v_dual_sub_f32 v15, v5, v6
	v_add_f32_e32 v1, v1, v6
	ds_store_b64 v48, v[1:2] offset:1296
	v_dual_add_f32 v1, v25, v27 :: v_dual_sub_f32 v2, v26, v32
	s_delay_alu instid0(VALU_DEP_1) | instskip(NEXT) | instid1(VALU_DEP_1)
	v_fma_f32 v8, -0.5, v1, v8
	v_fmamk_f32 v1, v2, 0x3f5db3d7, v8
	v_fmac_f32_e32 v8, 0xbf5db3d7, v2
	v_dual_add_f32 v2, v3, v4 :: v_dual_add_f32 v3, v5, v6
	s_delay_alu instid0(VALU_DEP_1) | instskip(NEXT) | instid1(VALU_DEP_2)
	v_fma_f32 v4, -0.5, v2, v99
	v_fma_f32 v3, -0.5, v3, v98
	v_fmamk_f32 v2, v7, 0xbf5db3d7, v9
	v_fmac_f32_e32 v9, 0x3f5db3d7, v7
	s_delay_alu instid0(VALU_DEP_4) | instskip(NEXT) | instid1(VALU_DEP_4)
	v_fmamk_f32 v6, v15, 0xbf5db3d7, v4
	v_fmamk_f32 v5, v14, 0x3f5db3d7, v3
	v_fmac_f32_e32 v3, 0xbf5db3d7, v14
	v_fmac_f32_e32 v4, 0x3f5db3d7, v15
	v_mul_f32_e32 v14, v124, v41
	ds_store_2addr_b64 v254, v[1:2], v[5:6] offset0:95 offset1:176
	v_cndmask_b32_e64 v1, 0, 0x32a, vcc_lo
	ds_store_2addr_b64 v18, v[8:9], v[3:4] offset0:109 offset1:190
	v_mul_f32_e32 v9, v125, v41
	v_fmac_f32_e32 v14, v125, v40
	v_add_co_u32 v0, vcc_lo, 0x1000, v0
	v_add_lshl_u32 v10, v10, v1, 3
	scratch_store_b128 off, v[28:31], off offset:436 ; 16-byte Folded Spill
	v_mov_b32_e32 v31, v18
	v_fma_f32 v9, v124, v40, -v9
	v_mul_f32_e32 v18, v204, v43
	scratch_store_b32 off, v10, off offset:292 ; 4-byte Folded Spill
	v_dual_mov_b32 v30, v233 :: v_dual_mov_b32 v29, v232
	v_add_nc_u32_e32 v28, 0x3c00, v48
	v_dual_fmac_f32 v18, v205, v42 :: v_dual_mul_f32 v3, v115, v93
	v_dual_mul_f32 v7, v119, v95 :: v_dual_mul_f32 v4, v114, v93
	v_mul_f32_e32 v8, v118, v95
	v_mul_f32_e32 v22, v213, v45
	s_delay_alu instid0(VALU_DEP_4) | instskip(NEXT) | instid1(VALU_DEP_4)
	v_fma_f32 v3, v114, v92, -v3
	v_fma_f32 v7, v118, v94, -v7
	v_fmac_f32_e32 v4, v115, v92
	v_fmac_f32_e32 v8, v119, v94
	v_mul_f32_e32 v15, v127, v57
	v_add_f32_e32 v5, v100, v3
	s_delay_alu instid0(VALU_DEP_4) | instskip(NEXT) | instid1(VALU_DEP_4)
	v_dual_add_f32 v1, v3, v7 :: v_dual_add_f32 v2, v101, v4
	v_dual_sub_f32 v6, v4, v8 :: v_dual_mul_f32 v19, v207, v59
	s_delay_alu instid0(VALU_DEP_4) | instskip(NEXT) | instid1(VALU_DEP_3)
	v_fma_f32 v15, v126, v56, -v15
	v_fma_f32 v100, -0.5, v1, v100
	v_add_f32_e32 v1, v4, v8
	v_add_f32_e32 v2, v2, v8
	v_mul_f32_e32 v16, v126, v57
	v_fma_f32 v19, v206, v58, -v19
	v_mul_f32_e32 v21, v206, v59
	v_fmac_f32_e32 v101, -0.5, v1
	v_add_f32_e32 v1, v5, v7
	v_sub_f32_e32 v5, v3, v7
	v_fmamk_f32 v3, v6, 0x3f5db3d7, v100
	v_fmac_f32_e32 v100, 0xbf5db3d7, v6
	v_fmac_f32_e32 v16, v127, v56
	ds_store_b64 v10, v[1:2]
	v_add_f32_e32 v1, v9, v17
	v_fmamk_f32 v4, v5, 0xbf5db3d7, v101
	v_dual_fmac_f32 v101, 0x3f5db3d7, v5 :: v_dual_sub_f32 v2, v14, v18
	ds_store_b64 v10, v[100:101] offset:4320
	ds_store_b64 v10, v[3:4] offset:2160
	v_fma_f32 v1, -0.5, v1, v120
	v_sub_f32_e32 v5, v9, v17
	v_fmac_f32_e32 v21, v207, v58
	v_dual_add_f32 v7, v122, v15 :: v_dual_add_f32 v8, v123, v16
	s_delay_alu instid0(VALU_DEP_4)
	v_fmamk_f32 v3, v2, 0x3f5db3d7, v1
	v_fmac_f32_e32 v1, 0xbf5db3d7, v2
	v_add_f32_e32 v2, v14, v18
	v_sub_f32_e32 v6, v16, v21
	v_dual_sub_f32 v10, v15, v19 :: v_dual_mul_f32 v23, v212, v45
	v_mul_f32_e32 v26, v217, v47
	s_delay_alu instid0(VALU_DEP_4) | instskip(SKIP_3) | instid1(VALU_DEP_4)
	v_fma_f32 v2, -0.5, v2, v121
	v_mul_f32_e32 v27, v216, v47
	v_dual_add_f32 v7, v7, v19 :: v_dual_add_f32 v8, v8, v21
	v_fma_f32 v22, v212, v44, -v22
	v_fmamk_f32 v4, v5, 0xbf5db3d7, v2
	v_dual_fmac_f32 v2, 0x3f5db3d7, v5 :: v_dual_add_f32 v5, v15, v19
	v_fmac_f32_e32 v23, v213, v44
	v_fma_f32 v26, v216, v46, -v26
	v_fmac_f32_e32 v27, v217, v46
	scratch_store_b128 off, v[35:38], off offset:468 ; 16-byte Folded Spill
	v_fma_f32 v122, -0.5, v5, v122
	v_mul_f32_e32 v24, v215, v241
	v_dual_mul_f32 v32, v219, v243 :: v_dual_mul_f32 v25, v214, v241
	v_mul_f32_e32 v51, v218, v243
	s_delay_alu instid0(VALU_DEP_4)
	v_fmamk_f32 v5, v6, 0x3f5db3d7, v122
	v_fmac_f32_e32 v122, 0xbf5db3d7, v6
	v_add_f32_e32 v6, v16, v21
	v_fma_f32 v24, v214, v240, -v24
	v_fma_f32 v32, v218, v242, -v32
	v_fmac_f32_e32 v25, v215, v240
	v_fmac_f32_e32 v51, v219, v242
	v_dual_fmac_f32 v123, -0.5, v6 :: v_dual_mul_f32 v98, v225, v245
	v_dual_mul_f32 v99, v224, v245 :: v_dual_mul_f32 v102, v227, v36
	v_mul_f32_e32 v103, v226, v36
	s_delay_alu instid0(VALU_DEP_3)
	v_fmamk_f32 v6, v10, 0xbf5db3d7, v123
	v_fmac_f32_e32 v123, 0x3f5db3d7, v10
	v_fma_f32 v98, v224, v244, -v98
	v_dual_fmac_f32 v99, v225, v244 :: v_dual_mul_f32 v10, v228, v247
	v_fma_f32 v102, v226, v35, -v102
	ds_store_2addr_b64 v251, v[1:2], v[122:123] offset0:124 offset1:205
	v_dual_add_f32 v1, v120, v9 :: v_dual_add_f32 v2, v121, v14
	v_mul_f32_e32 v9, v229, v247
	v_fmac_f32_e32 v10, v229, v246
	s_delay_alu instid0(VALU_DEP_3) | instskip(NEXT) | instid1(VALU_DEP_4)
	v_dual_mul_f32 v14, v231, v38 :: v_dual_add_f32 v1, v1, v17
	v_add_f32_e32 v2, v2, v18
	ds_store_2addr_b64 v249, v[1:2], v[7:8] offset0:96 offset1:177
	ds_store_2addr_b64 v250, v[3:4], v[5:6] offset0:110 offset1:191
	v_mad_u16 v5, 0x32a, v11, v33
	v_dual_add_f32 v1, v208, v22 :: v_dual_add_f32 v2, v209, v23
	v_dual_add_f32 v4, v23, v27 :: v_dual_add_f32 v3, v22, v26
	s_delay_alu instid0(VALU_DEP_3) | instskip(NEXT) | instid1(VALU_DEP_3)
	v_and_b32_e32 v5, 0xffff, v5
	v_dual_add_f32 v1, v1, v26 :: v_dual_add_f32 v2, v2, v27
	v_sub_f32_e32 v7, v23, v27
	s_delay_alu instid0(VALU_DEP_4) | instskip(SKIP_3) | instid1(VALU_DEP_4)
	v_fma_f32 v3, -0.5, v3, v208
	v_fma_f32 v4, -0.5, v4, v209
	v_dual_sub_f32 v8, v22, v26 :: v_dual_lshlrev_b32 v11, 3, v5
	v_fma_f32 v9, v228, v246, -v9
	v_fmamk_f32 v5, v7, 0x3f5db3d7, v3
	s_delay_alu instid0(VALU_DEP_3)
	v_dual_fmac_f32 v3, 0xbf5db3d7, v7 :: v_dual_fmamk_f32 v6, v8, 0xbf5db3d7, v4
	ds_store_b64 v11, v[1:2]
	v_add_f32_e32 v1, v24, v32
	v_fmac_f32_e32 v4, 0x3f5db3d7, v8
	scratch_store_b32 off, v11, off offset:324 ; 4-byte Folded Spill
	ds_store_b64 v11, v[5:6] offset:2160
	ds_store_b64 v11, v[3:4] offset:4320
	v_add_f32_e32 v3, v210, v24
	v_fma_f32 v210, -0.5, v1, v210
	v_dual_add_f32 v1, v25, v51 :: v_dual_add_f32 v2, v211, v25
	v_dual_sub_f32 v5, v25, v51 :: v_dual_sub_f32 v6, v24, v32
	v_fma_f32 v14, v230, v37, -v14
	s_delay_alu instid0(VALU_DEP_3) | instskip(SKIP_3) | instid1(VALU_DEP_4)
	v_fmac_f32_e32 v211, -0.5, v1
	v_add_f32_e32 v1, v3, v32
	v_dual_add_f32 v2, v2, v51 :: v_dual_and_b32 v3, 0xffff, v34
	v_mul_f32_e32 v15, v230, v38
	v_fmamk_f32 v4, v6, 0xbf5db3d7, v211
	v_fmac_f32_e32 v211, 0x3f5db3d7, v6
	s_delay_alu instid0(VALU_DEP_4)
	v_lshlrev_b32_e32 v7, 3, v3
	v_fmamk_f32 v3, v5, 0x3f5db3d7, v210
	v_fmac_f32_e32 v210, 0xbf5db3d7, v5
	v_and_b32_e32 v5, 0xffff, v39
	v_fmac_f32_e32 v103, v227, v35
	ds_store_b64 v7, v[1:2] offset:12960
	v_dual_add_f32 v1, v220, v98 :: v_dual_add_f32 v2, v221, v99
	v_lshlrev_b32_e32 v5, 3, v5
	scratch_store_b32 off, v7, off offset:344 ; 4-byte Folded Spill
	v_fmac_f32_e32 v15, v231, v37
	v_dual_add_f32 v1, v1, v9 :: v_dual_add_f32 v2, v2, v10
	ds_store_b64 v7, v[210:211] offset:17280
	ds_store_b64 v5, v[1:2] offset:12960
	v_dual_add_f32 v2, v99, v10 :: v_dual_add_f32 v1, v98, v9
	v_mov_b32_e32 v11, v5
	ds_store_b64 v7, v[3:4] offset:15120
	v_sub_f32_e32 v4, v99, v10
	v_fma_f32 v2, -0.5, v2, v221
	v_fma_f32 v1, -0.5, v1, v220
	v_sub_f32_e32 v5, v98, v9
	v_dual_add_f32 v6, v223, v103 :: v_dual_and_b32 v7, 0xffff, v50
	s_delay_alu instid0(VALU_DEP_3) | instskip(NEXT) | instid1(VALU_DEP_3)
	v_fmamk_f32 v3, v4, 0x3f5db3d7, v1
	v_dual_fmac_f32 v1, 0xbf5db3d7, v4 :: v_dual_fmamk_f32 v4, v5, 0xbf5db3d7, v2
	v_dual_fmac_f32 v2, 0x3f5db3d7, v5 :: v_dual_add_f32 v5, v222, v102
	s_delay_alu instid0(VALU_DEP_4)
	v_dual_sub_f32 v7, v102, v14 :: v_dual_lshlrev_b32 v8, 3, v7
	v_add_f32_e32 v6, v6, v15
	ds_store_b64 v11, v[1:2] offset:17280
	v_dual_add_f32 v1, v102, v14 :: v_dual_sub_f32 v2, v103, v15
	v_add_f32_e32 v5, v5, v14
	s_clause 0x1
	scratch_store_b32 off, v11, off offset:364
	scratch_store_b32 off, v8, off offset:340
	v_fma_f32 v222, -0.5, v1, v222
	v_add_f32_e32 v1, v103, v15
	s_delay_alu instid0(VALU_DEP_1) | instskip(NEXT) | instid1(VALU_DEP_3)
	v_fmac_f32_e32 v223, -0.5, v1
	v_fmamk_f32 v1, v2, 0x3f5db3d7, v222
	v_fmac_f32_e32 v222, 0xbf5db3d7, v2
	s_delay_alu instid0(VALU_DEP_3)
	v_fmamk_f32 v2, v7, 0xbf5db3d7, v223
	v_fmac_f32_e32 v223, 0x3f5db3d7, v7
	ds_store_b64 v8, v[222:223] offset:17280
	ds_store_b64 v11, v[3:4] offset:15120
	;; [unrolled: 1-line block ×4, first 2 shown]
	v_add_co_ci_u32_e64 v1, null, s11, 0, s2
	s_waitcnt lgkmcnt(0)
	s_waitcnt_vscnt null, 0x0
	s_barrier
	buffer_gl0_inv
	v_add_co_ci_u32_e32 v1, vcc_lo, 0, v1, vcc_lo
	s_clause 0x1
	global_load_b128 v[16:19], v[12:13], off offset:2304
	global_load_b128 v[12:15], v[0:1], off offset:2304
	ds_load_2addr_b64 v[0:3], v249 offset0:42 offset1:123
	s_waitcnt vmcnt(1) lgkmcnt(0)
	v_mul_f32_e32 v4, v1, v17
	v_mul_f32_e32 v7, v0, v17
	scratch_store_b128 off, v[16:19], off offset:372 ; 16-byte Folded Spill
	s_waitcnt vmcnt(0)
	scratch_store_b128 off, v[12:15], off offset:348 ; 16-byte Folded Spill
	v_mul_f32_e32 v9, v2, v13
	v_fma_f32 v6, v0, v16, -v4
	v_dual_mul_f32 v0, v3, v13 :: v_dual_fmac_f32 v7, v1, v16
	s_delay_alu instid0(VALU_DEP_3) | instskip(NEXT) | instid1(VALU_DEP_2)
	v_fmac_f32_e32 v9, v3, v12
	v_fma_f32 v8, v2, v12, -v0
	ds_load_2addr_b64 v[0:3], v248 offset0:84 offset1:165
	s_waitcnt lgkmcnt(0)
	v_mul_f32_e32 v4, v1, v19
	v_mul_f32_e32 v11, v0, v19
	;; [unrolled: 1-line block ×3, first 2 shown]
	s_delay_alu instid0(VALU_DEP_3) | instskip(NEXT) | instid1(VALU_DEP_3)
	v_fma_f32 v10, v0, v18, -v4
	v_dual_mul_f32 v0, v3, v15 :: v_dual_fmac_f32 v11, v1, v18
	s_delay_alu instid0(VALU_DEP_3) | instskip(NEXT) | instid1(VALU_DEP_2)
	v_fmac_f32_e32 v13, v3, v14
	v_fma_f32 v12, v2, v14, -v0
	ds_load_2addr_b64 v[0:3], v48 offset1:81
	v_sub_f32_e32 v14, v7, v11
	ds_load_2addr_b64 v[112:115], v48 offset0:162 offset1:243
	ds_load_2addr_b64 v[116:119], v253 offset0:76 offset1:157
	;; [unrolled: 1-line block ×12, first 2 shown]
	s_waitcnt lgkmcnt(12)
	v_dual_add_f32 v5, v1, v7 :: v_dual_add_f32 v4, v0, v6
	v_add_f32_e32 v7, v7, v11
	s_delay_alu instid0(VALU_DEP_2) | instskip(SKIP_1) | instid1(VALU_DEP_4)
	v_add_f32_e32 v5, v5, v11
	v_add_f32_e32 v11, v6, v10
	;; [unrolled: 1-line block ×3, first 2 shown]
	s_delay_alu instid0(VALU_DEP_4) | instskip(SKIP_1) | instid1(VALU_DEP_4)
	v_fma_f32 v1, -0.5, v7, v1
	v_sub_f32_e32 v10, v6, v10
	v_fma_f32 v0, -0.5, v11, v0
	s_delay_alu instid0(VALU_DEP_2) | instskip(NEXT) | instid1(VALU_DEP_2)
	v_fmamk_f32 v7, v10, 0xbf5db3d7, v1
	v_dual_fmac_f32 v1, 0x3f5db3d7, v10 :: v_dual_fmamk_f32 v6, v14, 0x3f5db3d7, v0
	v_fmac_f32_e32 v0, 0xbf5db3d7, v14
	ds_store_b64 v48, v[6:7] offset:6480
	ds_store_b64 v48, v[0:1] offset:12960
	v_dual_add_f32 v0, v2, v8 :: v_dual_add_f32 v1, v3, v9
	v_sub_f32_e32 v6, v8, v12
	s_delay_alu instid0(VALU_DEP_2) | instskip(SKIP_2) | instid1(VALU_DEP_1)
	v_dual_add_f32 v0, v0, v12 :: v_dual_add_f32 v1, v1, v13
	ds_store_2addr_b64 v48, v[4:5], v[0:1] offset1:81
	v_dual_add_f32 v0, v8, v12 :: v_dual_sub_f32 v5, v9, v13
	v_fma_f32 v2, -0.5, v0, v2
	v_add_f32_e32 v0, v9, v13
	s_delay_alu instid0(VALU_DEP_1) | instskip(SKIP_2) | instid1(VALU_DEP_1)
	v_dual_fmamk_f32 v4, v5, 0x3f5db3d7, v2 :: v_dual_fmac_f32 v3, -0.5, v0
	v_fmac_f32_e32 v2, 0xbf5db3d7, v5
	v_add_co_u32 v0, s2, s10, v97
	v_add_co_ci_u32_e64 v1, null, s11, 0, s2
	s_delay_alu instid0(VALU_DEP_4) | instskip(SKIP_1) | instid1(VALU_DEP_4)
	v_fmamk_f32 v5, v6, 0xbf5db3d7, v3
	v_dual_fmac_f32 v3, 0x3f5db3d7, v6 :: v_dual_lshlrev_b32 v6, 4, v96
	v_add_co_u32 v0, vcc_lo, 0x1000, v0
	s_delay_alu instid0(VALU_DEP_4) | instskip(NEXT) | instid1(VALU_DEP_3)
	v_add_co_ci_u32_e32 v1, vcc_lo, 0, v1, vcc_lo
	v_add_co_u32 v6, s2, s10, v6
	s_delay_alu instid0(VALU_DEP_1) | instskip(NEXT) | instid1(VALU_DEP_2)
	v_add_co_ci_u32_e64 v7, null, s11, 0, s2
	v_add_co_u32 v6, vcc_lo, 0x1000, v6
	s_delay_alu instid0(VALU_DEP_2)
	v_add_co_ci_u32_e32 v7, vcc_lo, 0, v7, vcc_lo
	s_clause 0x1
	global_load_b128 v[100:103], v[0:1], off offset:2304
	global_load_b128 v[96:99], v[6:7], off offset:2304
	s_waitcnt vmcnt(1) lgkmcnt(13)
	v_mul_f32_e32 v0, v117, v101
	v_mul_f32_e32 v9, v116, v101
	s_waitcnt lgkmcnt(12)
	v_mul_f32_e32 v11, v120, v103
	s_waitcnt vmcnt(0)
	v_mul_f32_e32 v13, v118, v97
	v_mul_f32_e32 v15, v122, v99
	v_fma_f32 v8, v116, v100, -v0
	v_mul_f32_e32 v0, v121, v103
	v_fmac_f32_e32 v9, v117, v100
	v_fmac_f32_e32 v11, v121, v102
	;; [unrolled: 1-line block ×4, first 2 shown]
	v_fma_f32 v10, v120, v102, -v0
	s_delay_alu instid0(VALU_DEP_1) | instskip(SKIP_1) | instid1(VALU_DEP_2)
	v_dual_sub_f32 v1, v9, v11 :: v_dual_add_f32 v0, v8, v10
	v_sub_f32_e32 v12, v8, v10
	v_fma_f32 v0, -0.5, v0, v112
	s_delay_alu instid0(VALU_DEP_1) | instskip(SKIP_2) | instid1(VALU_DEP_2)
	v_fmamk_f32 v6, v1, 0x3f5db3d7, v0
	v_dual_fmac_f32 v0, 0xbf5db3d7, v1 :: v_dual_add_f32 v1, v9, v11
	v_mov_b32_e32 v37, v106
	v_fma_f32 v1, -0.5, v1, v113
	s_delay_alu instid0(VALU_DEP_1)
	v_fmamk_f32 v7, v12, 0xbf5db3d7, v1
	v_fmac_f32_e32 v1, 0x3f5db3d7, v12
	ds_store_2addr_b64 v249, v[4:5], v[6:7] offset0:123 offset1:204
	ds_store_2addr_b64 v248, v[2:3], v[0:1] offset0:165 offset1:246
	v_mul_f32_e32 v0, v119, v97
	v_add_f32_e32 v1, v113, v9
	v_add_f32_e32 v3, v115, v13
	s_delay_alu instid0(VALU_DEP_3) | instskip(SKIP_1) | instid1(VALU_DEP_4)
	v_fma_f32 v12, v118, v96, -v0
	v_mul_f32_e32 v0, v123, v99
	v_add_f32_e32 v1, v1, v11
	s_delay_alu instid0(VALU_DEP_3) | instskip(NEXT) | instid1(VALU_DEP_3)
	v_dual_add_f32 v3, v3, v15 :: v_dual_add_f32 v2, v114, v12
	v_fma_f32 v14, v122, v98, -v0
	v_add_f32_e32 v0, v112, v8
	s_delay_alu instid0(VALU_DEP_2) | instskip(NEXT) | instid1(VALU_DEP_2)
	v_add_f32_e32 v2, v2, v14
	v_add_f32_e32 v0, v0, v10
	v_sub_f32_e32 v4, v12, v14
	ds_store_2addr_b64 v48, v[0:1], v[2:3] offset0:162 offset1:243
	v_dual_add_f32 v0, v12, v14 :: v_dual_sub_f32 v3, v13, v15
	s_delay_alu instid0(VALU_DEP_1) | instskip(SKIP_1) | instid1(VALU_DEP_1)
	v_fma_f32 v114, -0.5, v0, v114
	v_add_f32_e32 v0, v13, v15
	v_dual_fmamk_f32 v2, v3, 0x3f5db3d7, v114 :: v_dual_fmac_f32 v115, -0.5, v0
	v_lshlrev_b32_e32 v0, 4, v105
	s_delay_alu instid0(VALU_DEP_2) | instskip(SKIP_2) | instid1(VALU_DEP_4)
	v_dual_fmac_f32 v114, 0xbf5db3d7, v3 :: v_dual_fmamk_f32 v3, v4, 0xbf5db3d7, v115
	v_fmac_f32_e32 v115, 0x3f5db3d7, v4
	v_lshlrev_b32_e32 v4, 4, v104
	v_add_co_u32 v0, s2, s10, v0
	s_delay_alu instid0(VALU_DEP_1) | instskip(NEXT) | instid1(VALU_DEP_3)
	v_add_co_ci_u32_e64 v1, null, s11, 0, s2
	v_add_co_u32 v4, s2, s10, v4
	s_delay_alu instid0(VALU_DEP_3) | instskip(SKIP_1) | instid1(VALU_DEP_4)
	v_add_co_u32 v0, vcc_lo, 0x1000, v0
	v_add_co_ci_u32_e64 v5, null, s11, 0, s2
	v_add_co_ci_u32_e32 v1, vcc_lo, 0, v1, vcc_lo
	s_delay_alu instid0(VALU_DEP_4) | instskip(NEXT) | instid1(VALU_DEP_3)
	v_add_co_u32 v4, vcc_lo, 0x1000, v4
	v_add_co_ci_u32_e32 v5, vcc_lo, 0, v5, vcc_lo
	s_clause 0x1
	global_load_b128 v[120:123], v[0:1], off offset:2304
	global_load_b128 v[104:107], v[4:5], off offset:2304
	s_waitcnt vmcnt(1) lgkmcnt(13)
	v_mul_f32_e32 v0, v125, v121
	v_mul_f32_e32 v9, v124, v121
	s_waitcnt lgkmcnt(12)
	v_mul_f32_e32 v11, v208, v123
	s_waitcnt vmcnt(0)
	v_mul_f32_e32 v13, v126, v105
	v_mul_f32_e32 v15, v210, v107
	v_fma_f32 v8, v124, v120, -v0
	v_mul_f32_e32 v0, v209, v123
	v_fmac_f32_e32 v9, v125, v120
	v_fmac_f32_e32 v11, v209, v122
	;; [unrolled: 1-line block ×4, first 2 shown]
	v_fma_f32 v10, v208, v122, -v0
	s_delay_alu instid0(VALU_DEP_1) | instskip(SKIP_1) | instid1(VALU_DEP_2)
	v_dual_sub_f32 v1, v9, v11 :: v_dual_add_f32 v0, v8, v10
	v_sub_f32_e32 v6, v8, v10
	v_fma_f32 v0, -0.5, v0, v204
	s_delay_alu instid0(VALU_DEP_1) | instskip(SKIP_1) | instid1(VALU_DEP_1)
	v_fmamk_f32 v4, v1, 0x3f5db3d7, v0
	v_dual_fmac_f32 v0, 0xbf5db3d7, v1 :: v_dual_add_f32 v1, v9, v11
	v_fma_f32 v1, -0.5, v1, v205
	s_delay_alu instid0(VALU_DEP_1) | instskip(SKIP_3) | instid1(VALU_DEP_1)
	v_fmamk_f32 v5, v6, 0xbf5db3d7, v1
	v_dual_fmac_f32 v1, 0x3f5db3d7, v6 :: v_dual_lshlrev_b32 v6, 4, v108
	ds_store_2addr_b64 v30, v[114:115], v[0:1] offset0:71 offset1:152
	v_mul_f32_e32 v0, v127, v105
	v_fma_f32 v12, v126, v104, -v0
	v_mul_f32_e32 v0, v211, v107
	s_delay_alu instid0(VALU_DEP_1) | instskip(SKIP_1) | instid1(VALU_DEP_1)
	v_fma_f32 v14, v210, v106, -v0
	v_lshlrev_b32_e32 v0, 4, v109
	v_add_co_u32 v0, s2, s10, v0
	s_delay_alu instid0(VALU_DEP_1) | instskip(SKIP_1) | instid1(VALU_DEP_3)
	v_add_co_ci_u32_e64 v1, null, s11, 0, s2
	v_add_co_u32 v6, s2, s10, v6
	v_add_co_u32 v0, vcc_lo, 0x1000, v0
	v_add_co_ci_u32_e64 v7, null, s11, 0, s2
	s_delay_alu instid0(VALU_DEP_4) | instskip(NEXT) | instid1(VALU_DEP_4)
	v_add_co_ci_u32_e32 v1, vcc_lo, 0, v1, vcc_lo
	v_add_co_u32 v6, vcc_lo, 0x1000, v6
	s_delay_alu instid0(VALU_DEP_3)
	v_add_co_ci_u32_e32 v7, vcc_lo, 0, v7, vcc_lo
	s_clause 0x1
	global_load_b128 v[124:127], v[0:1], off offset:2304
	global_load_b128 v[112:115], v[6:7], off offset:2304
	v_lshlrev_b32_e32 v6, 4, v110
	s_waitcnt vmcnt(1) lgkmcnt(11)
	v_mul_f32_e32 v0, v217, v125
	v_mul_f32_e32 v17, v216, v125
	s_waitcnt lgkmcnt(10)
	v_mul_f32_e32 v21, v220, v127
	s_waitcnt vmcnt(0)
	v_mul_f32_e32 v19, v218, v113
	v_mul_f32_e32 v23, v222, v115
	v_fma_f32 v16, v216, v124, -v0
	v_dual_mul_f32 v0, v219, v113 :: v_dual_fmac_f32 v17, v217, v124
	v_fmac_f32_e32 v21, v221, v126
	v_fmac_f32_e32 v19, v219, v112
	;; [unrolled: 1-line block ×3, first 2 shown]
	s_delay_alu instid0(VALU_DEP_4) | instskip(SKIP_1) | instid1(VALU_DEP_1)
	v_fma_f32 v18, v218, v112, -v0
	v_mul_f32_e32 v0, v221, v127
	v_fma_f32 v20, v220, v126, -v0
	v_mul_f32_e32 v0, v223, v115
	s_delay_alu instid0(VALU_DEP_1) | instskip(SKIP_1) | instid1(VALU_DEP_1)
	v_fma_f32 v22, v222, v114, -v0
	v_lshlrev_b32_e32 v0, 4, v111
	v_add_co_u32 v0, s2, s10, v0
	s_delay_alu instid0(VALU_DEP_1) | instskip(SKIP_1) | instid1(VALU_DEP_3)
	v_add_co_ci_u32_e64 v1, null, s11, 0, s2
	v_add_co_u32 v6, s2, s10, v6
	v_add_co_u32 v0, vcc_lo, 0x1000, v0
	v_add_co_ci_u32_e64 v7, null, s11, 0, s2
	s_delay_alu instid0(VALU_DEP_4) | instskip(NEXT) | instid1(VALU_DEP_4)
	v_add_co_ci_u32_e32 v1, vcc_lo, 0, v1, vcc_lo
	v_add_co_u32 v6, vcc_lo, 0x1000, v6
	s_delay_alu instid0(VALU_DEP_3)
	v_add_co_ci_u32_e32 v7, vcc_lo, 0, v7, vcc_lo
	s_clause 0x1
	global_load_b128 v[116:119], v[0:1], off offset:2304
	global_load_b128 v[108:111], v[6:7], off offset:2304
	v_dual_add_f32 v6, v206, v12 :: v_dual_sub_f32 v1, v13, v15
	ds_store_2addr_b64 v250, v[2:3], v[4:5] offset0:29 offset1:110
	v_dual_add_f32 v7, v207, v13 :: v_dual_sub_f32 v2, v12, v14
	v_dual_sub_f32 v3, v17, v21 :: v_dual_add_f32 v6, v6, v14
	s_mov_b32 s2, 0x40e53dbc
	s_delay_alu instid0(VALU_DEP_2)
	v_add_f32_e32 v7, v7, v15
	s_mov_b32 s3, 0x3f3af834
	s_waitcnt vmcnt(1) lgkmcnt(9)
	v_mul_f32_e32 v0, v229, v117
	v_mul_f32_e32 v25, v228, v117
	s_waitcnt vmcnt(0)
	v_mul_f32_e32 v27, v230, v109
	s_delay_alu instid0(VALU_DEP_3) | instskip(NEXT) | instid1(VALU_DEP_3)
	v_fma_f32 v24, v228, v116, -v0
	v_dual_mul_f32 v0, v231, v109 :: v_dual_fmac_f32 v25, v229, v116
	s_delay_alu instid0(VALU_DEP_3) | instskip(NEXT) | instid1(VALU_DEP_2)
	v_fmac_f32_e32 v27, v231, v108
	v_fma_f32 v26, v230, v108, -v0
	v_add_f32_e32 v0, v12, v14
	v_sub_f32_e32 v12, v16, v20
	s_delay_alu instid0(VALU_DEP_2) | instskip(NEXT) | instid1(VALU_DEP_1)
	v_fma_f32 v206, -0.5, v0, v206
	v_fmamk_f32 v0, v1, 0x3f5db3d7, v206
	v_dual_fmac_f32 v206, 0xbf5db3d7, v1 :: v_dual_add_f32 v1, v13, v15
	s_waitcnt lgkmcnt(8)
	v_mul_f32_e32 v13, v234, v111
	s_delay_alu instid0(VALU_DEP_2) | instskip(NEXT) | instid1(VALU_DEP_2)
	v_fmac_f32_e32 v207, -0.5, v1
	v_fmac_f32_e32 v13, v235, v110
	s_delay_alu instid0(VALU_DEP_2) | instskip(SKIP_1) | instid1(VALU_DEP_1)
	v_fmamk_f32 v1, v2, 0xbf5db3d7, v207
	v_dual_fmac_f32 v207, 0x3f5db3d7, v2 :: v_dual_add_f32 v2, v16, v20
	v_fma_f32 v2, -0.5, v2, v212
	s_delay_alu instid0(VALU_DEP_1) | instskip(SKIP_1) | instid1(VALU_DEP_1)
	v_fmamk_f32 v4, v3, 0x3f5db3d7, v2
	v_dual_fmac_f32 v2, 0xbf5db3d7, v3 :: v_dual_add_f32 v3, v17, v21
	v_fma_f32 v3, -0.5, v3, v213
	s_delay_alu instid0(VALU_DEP_1)
	v_fmamk_f32 v5, v12, 0xbf5db3d7, v3
	v_dual_fmac_f32 v3, 0x3f5db3d7, v12 :: v_dual_mul_f32 v12, v235, v111
	ds_store_2addr_b64 v28, v[206:207], v[2:3] offset0:105 offset1:186
	v_dual_add_f32 v2, v204, v8 :: v_dual_add_f32 v3, v205, v9
	v_mul_f32_e32 v8, v233, v119
	v_mul_f32_e32 v9, v232, v119
	v_fma_f32 v12, v234, v110, -v12
	s_delay_alu instid0(VALU_DEP_4) | instskip(NEXT) | instid1(VALU_DEP_4)
	v_dual_add_f32 v2, v2, v10 :: v_dual_add_f32 v3, v3, v11
	v_fma_f32 v8, v232, v118, -v8
	s_delay_alu instid0(VALU_DEP_4)
	v_fmac_f32_e32 v9, v233, v118
	ds_store_2addr_b64 v254, v[2:3], v[6:7] offset0:68 offset1:149
	v_dual_add_f32 v3, v215, v19 :: v_dual_add_nc_u32 v2, 0x2400, v48
	v_dual_sub_f32 v6, v25, v9 :: v_dual_sub_f32 v7, v24, v8
	ds_store_2addr_b64 v2, v[0:1], v[4:5] offset0:63 offset1:144
	v_dual_mov_b32 v35, v2 :: v_dual_add_f32 v0, v212, v16
	v_dual_add_f32 v1, v213, v17 :: v_dual_add_f32 v2, v214, v18
	s_delay_alu instid0(VALU_DEP_2) | instskip(NEXT) | instid1(VALU_DEP_2)
	v_dual_add_f32 v3, v3, v23 :: v_dual_add_f32 v0, v0, v20
	v_dual_add_f32 v1, v1, v21 :: v_dual_add_f32 v2, v2, v22
	ds_store_2addr_b64 v29, v[0:1], v[2:3] offset0:102 offset1:183
	v_dual_add_f32 v0, v18, v22 :: v_dual_sub_f32 v1, v19, v23
	v_dual_sub_f32 v2, v18, v22 :: v_dual_add_f32 v3, v25, v9
	s_delay_alu instid0(VALU_DEP_2) | instskip(SKIP_1) | instid1(VALU_DEP_3)
	v_fma_f32 v214, -0.5, v0, v214
	v_add_f32_e32 v0, v19, v23
	v_fma_f32 v3, -0.5, v3, v225
	s_delay_alu instid0(VALU_DEP_2) | instskip(NEXT) | instid1(VALU_DEP_2)
	v_dual_fmac_f32 v215, -0.5, v0 :: v_dual_fmamk_f32 v0, v1, 0x3f5db3d7, v214
	v_dual_fmac_f32 v214, 0xbf5db3d7, v1 :: v_dual_fmamk_f32 v5, v7, 0xbf5db3d7, v3
	v_fmac_f32_e32 v3, 0x3f5db3d7, v7
	s_delay_alu instid0(VALU_DEP_3) | instskip(SKIP_3) | instid1(VALU_DEP_1)
	v_fmamk_f32 v1, v2, 0xbf5db3d7, v215
	v_dual_fmac_f32 v215, 0x3f5db3d7, v2 :: v_dual_add_f32 v2, v24, v8
	ds_store_b64 v48, v[214:215] offset:17496
	v_fma_f32 v2, -0.5, v2, v224
	v_fmamk_f32 v4, v6, 0x3f5db3d7, v2
	v_fmac_f32_e32 v2, 0xbf5db3d7, v6
	v_sub_f32_e32 v6, v26, v12
	ds_store_2addr_b64 v251, v[0:1], v[4:5] offset0:97 offset1:178
	v_add_f32_e32 v0, v26, v12
	v_dual_add_f32 v4, v226, v26 :: v_dual_sub_f32 v1, v27, v13
	v_add_f32_e32 v5, v227, v27
	s_delay_alu instid0(VALU_DEP_3) | instskip(NEXT) | instid1(VALU_DEP_2)
	v_fma_f32 v226, -0.5, v0, v226
	v_dual_add_f32 v4, v4, v12 :: v_dual_add_f32 v5, v5, v13
	s_delay_alu instid0(VALU_DEP_2) | instskip(SKIP_2) | instid1(VALU_DEP_1)
	v_fmamk_f32 v0, v1, 0x3f5db3d7, v226
	v_fmac_f32_e32 v226, 0xbf5db3d7, v1
	v_add_f32_e32 v1, v27, v13
	v_fmac_f32_e32 v227, -0.5, v1
	s_delay_alu instid0(VALU_DEP_1)
	v_fmamk_f32 v1, v6, 0xbf5db3d7, v227
	v_fmac_f32_e32 v227, 0x3f5db3d7, v6
	v_add_co_u32 v6, vcc_lo, 0x4bf0, v202
	v_add_co_ci_u32_e32 v7, vcc_lo, 0, v203, vcc_lo
	ds_store_2addr_b64 v49, v[2:3], v[226:227] offset0:92 offset1:173
	v_dual_add_f32 v2, v224, v24 :: v_dual_add_f32 v3, v225, v25
	s_delay_alu instid0(VALU_DEP_1)
	v_dual_add_f32 v2, v2, v8 :: v_dual_add_f32 v3, v3, v9
	ds_store_2addr_b64 v31, v[2:3], v[4:5] offset0:136 offset1:217
	ds_store_b64 v48, v[0:1] offset:12312
	s_waitcnt lgkmcnt(0)
	s_waitcnt_vscnt null, 0x0
	s_barrier
	buffer_gl0_inv
	s_clause 0x2
	global_load_b64 v[4:5], v[200:201], off offset:3056
	global_load_b64 v[8:9], v[6:7], off offset:648
	;; [unrolled: 1-line block ×3, first 2 shown]
	ds_load_2addr_b64 v[0:3], v48 offset1:81
	s_waitcnt vmcnt(2) lgkmcnt(0)
	v_mul_f32_e32 v12, v1, v5
	v_mul_f32_e32 v13, v0, v5
	s_waitcnt vmcnt(1)
	v_mul_f32_e32 v5, v2, v9
	s_delay_alu instid0(VALU_DEP_3) | instskip(NEXT) | instid1(VALU_DEP_3)
	v_fma_f32 v12, v0, v4, -v12
	v_dual_mul_f32 v0, v3, v9 :: v_dual_fmac_f32 v13, v1, v4
	s_delay_alu instid0(VALU_DEP_3) | instskip(NEXT) | instid1(VALU_DEP_2)
	v_fmac_f32_e32 v5, v3, v8
	v_fma_f32 v4, v2, v8, -v0
	v_add_co_u32 v8, vcc_lo, 0x6000, v202
	v_add_co_ci_u32_e32 v9, vcc_lo, 0, v203, vcc_lo
	ds_store_b64 v48, v[12:13]
	s_clause 0x2
	global_load_b64 v[12:13], v[6:7], off offset:3888
	global_load_b64 v[14:15], v[8:9], off offset:48
	;; [unrolled: 1-line block ×3, first 2 shown]
	ds_load_2addr_b64 v[0:3], v29 offset0:102 offset1:183
	s_waitcnt vmcnt(2) lgkmcnt(0)
	v_mul_f32_e32 v18, v1, v13
	v_mul_f32_e32 v19, v0, v13
	s_delay_alu instid0(VALU_DEP_2) | instskip(SKIP_1) | instid1(VALU_DEP_3)
	v_fma_f32 v18, v0, v12, -v18
	v_add_co_u32 v0, vcc_lo, 0x5000, v202
	v_fmac_f32_e32 v19, v1, v12
	v_add_co_ci_u32_e32 v1, vcc_lo, 0, v203, vcc_lo
	v_add_co_u32 v12, vcc_lo, 0x9000, v202
	v_add_co_ci_u32_e32 v13, vcc_lo, 0, v203, vcc_lo
	s_clause 0x3
	global_load_b64 v[0:1], v[0:1], off offset:3496
	global_load_b64 v[20:21], v[12:13], off offset:1368
	;; [unrolled: 1-line block ×4, first 2 shown]
	s_waitcnt vmcnt(3)
	v_mul_f32_e32 v22, v3, v1
	v_mul_f32_e32 v23, v2, v1
	s_delay_alu instid0(VALU_DEP_2) | instskip(NEXT) | instid1(VALU_DEP_2)
	v_fma_f32 v22, v2, v0, -v22
	v_fmac_f32_e32 v23, v3, v0
	ds_load_2addr_b64 v[0:3], v253 offset0:76 offset1:157
	s_waitcnt vmcnt(1) lgkmcnt(0)
	v_mul_f32_e32 v32, v1, v25
	v_mul_f32_e32 v33, v0, v25
	s_delay_alu instid0(VALU_DEP_2) | instskip(NEXT) | instid1(VALU_DEP_2)
	v_fma_f32 v32, v0, v24, -v32
	v_fmac_f32_e32 v33, v1, v24
	v_add_co_u32 v24, vcc_lo, 0x7000, v202
	v_add_co_ci_u32_e32 v25, vcc_lo, 0, v203, vcc_lo
	s_clause 0x6
	global_load_b64 v[0:1], v[8:9], off offset:3288
	global_load_b64 v[50:51], v[24:25], off offset:1136
	;; [unrolled: 1-line block ×7, first 2 shown]
	v_add_co_u32 v202, vcc_lo, 0x8000, v202
	v_add_co_ci_u32_e32 v203, vcc_lo, 0, v203, vcc_lo
	s_waitcnt vmcnt(6)
	v_mul_f32_e32 v34, v3, v1
	v_mul_f32_e32 v205, v2, v1
	s_delay_alu instid0(VALU_DEP_2) | instskip(NEXT) | instid1(VALU_DEP_2)
	v_fma_f32 v204, v2, v0, -v34
	v_fmac_f32_e32 v205, v3, v0
	ds_load_2addr_b64 v[0:3], v255 offset0:50 offset1:131
	s_waitcnt vmcnt(3) lgkmcnt(0)
	v_mul_f32_e32 v34, v1, v207
	v_mul_f32_e32 v215, v0, v207
	s_waitcnt vmcnt(2)
	v_mul_f32_e32 v207, v2, v209
	s_delay_alu instid0(VALU_DEP_3) | instskip(NEXT) | instid1(VALU_DEP_3)
	v_fma_f32 v214, v0, v206, -v34
	v_dual_mul_f32 v0, v3, v209 :: v_dual_fmac_f32 v215, v1, v206
	s_delay_alu instid0(VALU_DEP_3) | instskip(NEXT) | instid1(VALU_DEP_2)
	v_fmac_f32_e32 v207, v3, v208
	v_fma_f32 v206, v2, v208, -v0
	s_clause 0x1
	global_load_b64 v[208:209], v[202:203], off offset:2224
	global_load_b64 v[216:217], v[202:203], off offset:1576
	ds_load_2addr_b64 v[0:3], v30 offset0:152 offset1:233
	s_waitcnt vmcnt(1) lgkmcnt(0)
	v_mul_f32_e32 v34, v1, v209
	v_mul_f32_e32 v219, v0, v209
	s_delay_alu instid0(VALU_DEP_2) | instskip(NEXT) | instid1(VALU_DEP_2)
	v_fma_f32 v218, v0, v208, -v34
	v_fmac_f32_e32 v219, v1, v208
	s_clause 0x4
	global_load_b64 v[0:1], v[202:203], off offset:2872
	global_load_b64 v[208:209], v[12:13], off offset:720
	global_load_b64 v[220:221], v[202:203], off offset:3520
	global_load_b64 v[224:225], v[6:7], off offset:1944
	global_load_b64 v[6:7], v[6:7], off offset:2592
	s_waitcnt vmcnt(4)
	v_mul_f32_e32 v34, v3, v1
	v_mul_f32_e32 v223, v2, v1
	s_delay_alu instid0(VALU_DEP_2) | instskip(NEXT) | instid1(VALU_DEP_2)
	v_fma_f32 v222, v2, v0, -v34
	v_fmac_f32_e32 v223, v3, v0
	ds_load_2addr_b64 v[0:3], v48 offset0:162 offset1:243
	s_waitcnt vmcnt(1) lgkmcnt(0)
	v_mul_f32_e32 v34, v3, v225
	v_mul_f32_e32 v227, v2, v225
	;; [unrolled: 1-line block ×3, first 2 shown]
	s_delay_alu instid0(VALU_DEP_3) | instskip(NEXT) | instid1(VALU_DEP_3)
	v_fma_f32 v226, v2, v224, -v34
	v_dual_mul_f32 v2, v1, v11 :: v_dual_fmac_f32 v227, v3, v224
	s_delay_alu instid0(VALU_DEP_3) | instskip(NEXT) | instid1(VALU_DEP_2)
	v_fmac_f32_e32 v225, v1, v10
	v_fma_f32 v224, v0, v10, -v2
	ds_load_2addr_b64 v[0:3], v254 offset0:68 offset1:149
	s_waitcnt vmcnt(0) lgkmcnt(0)
	v_mul_f32_e32 v10, v1, v7
	v_mul_f32_e32 v11, v0, v7
	;; [unrolled: 1-line block ×3, first 2 shown]
	s_delay_alu instid0(VALU_DEP_3) | instskip(NEXT) | instid1(VALU_DEP_3)
	v_fma_f32 v10, v0, v6, -v10
	v_dual_mul_f32 v0, v3, v17 :: v_dual_fmac_f32 v11, v1, v6
	s_delay_alu instid0(VALU_DEP_3) | instskip(NEXT) | instid1(VALU_DEP_2)
	v_fmac_f32_e32 v7, v3, v16
	v_fma_f32 v6, v2, v16, -v0
	s_clause 0x2
	global_load_b64 v[16:17], v[8:9], off offset:696
	global_load_b64 v[8:9], v[8:9], off offset:1344
	;; [unrolled: 1-line block ×3, first 2 shown]
	ds_load_2addr_b64 v[0:3], v31 offset0:136 offset1:217
	s_waitcnt vmcnt(2) lgkmcnt(0)
	v_mul_f32_e32 v34, v3, v17
	v_mul_f32_e32 v229, v2, v17
	v_mul_f32_e32 v17, v0, v15
	s_delay_alu instid0(VALU_DEP_3) | instskip(NEXT) | instid1(VALU_DEP_3)
	v_fma_f32 v228, v2, v16, -v34
	v_dual_mul_f32 v2, v1, v15 :: v_dual_fmac_f32 v229, v3, v16
	s_delay_alu instid0(VALU_DEP_3) | instskip(NEXT) | instid1(VALU_DEP_2)
	v_fmac_f32_e32 v17, v1, v14
	v_fma_f32 v16, v0, v14, -v2
	ds_load_2addr_b64 v[0:3], v249 offset0:42 offset1:123
	s_waitcnt vmcnt(1) lgkmcnt(0)
	v_mul_f32_e32 v14, v1, v9
	v_mul_f32_e32 v15, v0, v9
	v_mul_f32_e32 v9, v2, v27
	s_delay_alu instid0(VALU_DEP_3) | instskip(NEXT) | instid1(VALU_DEP_3)
	v_fma_f32 v14, v0, v8, -v14
	v_dual_mul_f32 v0, v3, v27 :: v_dual_fmac_f32 v15, v1, v8
	s_delay_alu instid0(VALU_DEP_3) | instskip(NEXT) | instid1(VALU_DEP_2)
	v_fmac_f32_e32 v9, v3, v26
	v_fma_f32 v8, v2, v26, -v0
	;; [unrolled: 11-line block ×3, first 2 shown]
	ds_load_2addr_b64 v[0:3], v251 offset0:16 offset1:97
	s_waitcnt lgkmcnt(0)
	v_mul_f32_e32 v34, v1, v51
	v_mul_f32_e32 v201, v0, v51
	;; [unrolled: 1-line block ×3, first 2 shown]
	s_delay_alu instid0(VALU_DEP_3) | instskip(NEXT) | instid1(VALU_DEP_3)
	v_fma_f32 v200, v0, v50, -v34
	v_dual_mul_f32 v0, v3, v213 :: v_dual_fmac_f32 v201, v1, v50
	s_delay_alu instid0(VALU_DEP_3) | instskip(NEXT) | instid1(VALU_DEP_2)
	v_fmac_f32_e32 v51, v3, v212
	v_fma_f32 v50, v2, v212, -v0
	s_clause 0x2
	global_load_b64 v[212:213], v[202:203], off offset:280
	global_load_b64 v[202:203], v[202:203], off offset:928
	;; [unrolled: 1-line block ×3, first 2 shown]
	ds_load_2addr_b64 v[0:3], v248 offset0:84 offset1:165
	s_waitcnt vmcnt(2) lgkmcnt(0)
	v_mul_f32_e32 v34, v3, v213
	v_mul_f32_e32 v231, v2, v213
	v_mul_f32_e32 v213, v0, v211
	s_delay_alu instid0(VALU_DEP_3) | instskip(NEXT) | instid1(VALU_DEP_3)
	v_fma_f32 v230, v2, v212, -v34
	v_dual_mul_f32 v2, v1, v211 :: v_dual_fmac_f32 v231, v3, v212
	s_delay_alu instid0(VALU_DEP_3) | instskip(NEXT) | instid1(VALU_DEP_2)
	v_fmac_f32_e32 v213, v1, v210
	v_fma_f32 v212, v0, v210, -v2
	ds_load_2addr_b64 v[0:3], v37 offset0:118 offset1:199
	s_waitcnt vmcnt(1) lgkmcnt(0)
	v_mul_f32_e32 v34, v1, v203
	v_mul_f32_e32 v211, v0, v203
	v_mul_f32_e32 v203, v2, v217
	s_delay_alu instid0(VALU_DEP_3) | instskip(NEXT) | instid1(VALU_DEP_3)
	v_fma_f32 v210, v0, v202, -v34
	v_dual_mul_f32 v0, v3, v217 :: v_dual_fmac_f32 v211, v1, v202
	s_delay_alu instid0(VALU_DEP_3) | instskip(NEXT) | instid1(VALU_DEP_2)
	v_fmac_f32_e32 v203, v3, v216
	v_fma_f32 v202, v2, v216, -v0
	;; [unrolled: 11-line block ×3, first 2 shown]
	ds_load_2addr_b64 v[0:3], v49 offset0:92 offset1:173
	s_waitcnt lgkmcnt(0)
	v_mul_f32_e32 v34, v1, v209
	v_mul_f32_e32 v221, v0, v209
	s_delay_alu instid0(VALU_DEP_2) | instskip(NEXT) | instid1(VALU_DEP_2)
	v_fma_f32 v220, v0, v208, -v34
	v_dual_mul_f32 v0, v3, v21 :: v_dual_fmac_f32 v221, v1, v208
	v_mul_f32_e32 v1, v2, v21
	s_delay_alu instid0(VALU_DEP_2) | instskip(SKIP_1) | instid1(VALU_DEP_3)
	v_fma_f32 v0, v2, v20, -v0
	v_add_nc_u32_e32 v2, 0x400, v48
	v_fmac_f32_e32 v1, v3, v20
	ds_store_2addr_b64 v2, v[226:227], v[10:11] offset0:115 offset1:196
	v_add_nc_u32_e32 v2, 0x1400, v48
	ds_store_2addr_b64 v2, v[228:229], v[14:15] offset0:89 offset1:170
	ds_store_2addr_b64 v35, v[26:27], v[200:201] offset0:63 offset1:144
	;; [unrolled: 1-line block ×13, first 2 shown]
	ds_store_b64 v48, v[0:1] offset:18792
	s_waitcnt lgkmcnt(0)
	s_barrier
	buffer_gl0_inv
	ds_load_2addr_b64 v[220:223], v29 offset0:102 offset1:183
	ds_load_2addr_b64 v[224:227], v253 offset0:76 offset1:157
	;; [unrolled: 1-line block ×6, first 2 shown]
	s_waitcnt lgkmcnt(3)
	v_sub_f32_e32 v9, v224, v232
	v_mov_b32_e32 v2, v252
	ds_load_2addr_b64 v[216:219], v248 offset0:84 offset1:165
	ds_load_2addr_b64 v[212:215], v2 offset0:58 offset1:139
	v_sub_f32_e32 v0, v220, v224
	s_waitcnt lgkmcnt(4)
	v_sub_f32_e32 v1, v228, v232
	ds_load_2addr_b64 v[200:203], v48 offset0:162 offset1:243
	v_add_f32_e32 v5, v220, v228
	ds_load_2addr_b64 v[20:23], v249 offset0:42 offset1:123
	v_sub_f32_e32 v28, v225, v233
	v_add_f32_e32 v255, v0, v1
	v_sub_f32_e32 v0, v221, v225
	v_sub_f32_e32 v1, v229, v233
	;; [unrolled: 1-line block ×4, first 2 shown]
	s_delay_alu instid0(VALU_DEP_3)
	v_add_f32_e32 v252, v0, v1
	s_waitcnt lgkmcnt(4)
	v_sub_f32_e32 v0, v206, v210
	v_mov_b32_e32 v14, v254
	s_waitcnt lgkmcnt(3)
	v_sub_f32_e32 v40, v210, v218
	s_waitcnt lgkmcnt(2)
	v_sub_f32_e32 v1, v214, v218
	v_dual_sub_f32 v50, v206, v214 :: v_dual_sub_f32 v35, v207, v215
	v_sub_f32_e32 v39, v211, v219
	v_sub_f32_e32 v7, v219, v215
	s_delay_alu instid0(VALU_DEP_4) | instskip(SKIP_1) | instid1(VALU_DEP_1)
	v_dual_add_f32 v49, v0, v1 :: v_dual_sub_f32 v0, v207, v211
	v_sub_f32_e32 v1, v215, v219
	v_add_f32_e32 v254, v0, v1
	v_add_f32_e32 v0, v211, v219
	s_waitcnt lgkmcnt(1)
	s_delay_alu instid0(VALU_DEP_1) | instskip(SKIP_1) | instid1(VALU_DEP_1)
	v_fma_f32 v32, -0.5, v0, v203
	v_add_f32_e32 v0, v210, v218
	v_fma_f32 v253, -0.5, v0, v202
	s_delay_alu instid0(VALU_DEP_3) | instskip(NEXT) | instid1(VALU_DEP_2)
	v_fmamk_f32 v0, v50, 0x3f737871, v32
	v_fmamk_f32 v1, v35, 0xbf737871, v253
	s_delay_alu instid0(VALU_DEP_2) | instskip(SKIP_1) | instid1(VALU_DEP_3)
	v_fmac_f32_e32 v0, 0x3f167918, v40
	v_fmac_f32_e32 v253, 0x3f737871, v35
	;; [unrolled: 1-line block ×3, first 2 shown]
	s_delay_alu instid0(VALU_DEP_3) | instskip(NEXT) | instid1(VALU_DEP_3)
	v_fmac_f32_e32 v0, 0x3e9e377a, v254
	v_fmac_f32_e32 v253, 0x3f167918, v39
	s_delay_alu instid0(VALU_DEP_3) | instskip(NEXT) | instid1(VALU_DEP_3)
	v_fmac_f32_e32 v1, 0x3e9e377a, v49
	v_mul_f32_e32 v34, 0xbf167918, v0
	s_delay_alu instid0(VALU_DEP_3) | instskip(NEXT) | instid1(VALU_DEP_3)
	v_fmac_f32_e32 v253, 0x3e9e377a, v49
	v_mul_f32_e32 v33, 0x3f167918, v1
	s_delay_alu instid0(VALU_DEP_3) | instskip(NEXT) | instid1(VALU_DEP_2)
	v_dual_fmac_f32 v34, 0x3f4f1bbd, v1 :: v_dual_sub_f32 v1, v232, v228
	v_fmac_f32_e32 v33, 0x3f4f1bbd, v0
	v_sub_f32_e32 v0, v224, v220
	s_delay_alu instid0(VALU_DEP_1) | instskip(SKIP_4) | instid1(VALU_DEP_2)
	v_add_f32_e32 v4, v0, v1
	ds_load_2addr_b64 v[0:3], v48 offset1:81
	s_waitcnt lgkmcnt(0)
	v_fma_f32 v51, -0.5, v5, v0
	v_sub_f32_e32 v5, v233, v229
	v_fmamk_f32 v29, v28, 0x3f737871, v51
	v_fmac_f32_e32 v51, 0xbf737871, v28
	s_delay_alu instid0(VALU_DEP_2) | instskip(NEXT) | instid1(VALU_DEP_2)
	v_fmac_f32_e32 v29, 0xbf167918, v30
	v_fmac_f32_e32 v51, 0x3f167918, v30
	s_delay_alu instid0(VALU_DEP_2) | instskip(NEXT) | instid1(VALU_DEP_2)
	v_fmac_f32_e32 v29, 0x3e9e377a, v4
	v_dual_fmac_f32 v51, 0x3e9e377a, v4 :: v_dual_sub_f32 v4, v225, v221
	s_delay_alu instid0(VALU_DEP_1) | instskip(SKIP_1) | instid1(VALU_DEP_1)
	v_add_f32_e32 v4, v4, v5
	v_add_f32_e32 v5, v221, v229
	v_fma_f32 v31, -0.5, v5, v1
	s_delay_alu instid0(VALU_DEP_1) | instskip(SKIP_1) | instid1(VALU_DEP_2)
	v_dual_sub_f32 v5, v218, v214 :: v_dual_fmamk_f32 v8, v9, 0xbf737871, v31
	v_fmac_f32_e32 v31, 0x3f737871, v9
	v_fmac_f32_e32 v8, 0x3f167918, v36
	s_delay_alu instid0(VALU_DEP_2) | instskip(NEXT) | instid1(VALU_DEP_2)
	v_fmac_f32_e32 v31, 0xbf167918, v36
	v_fmac_f32_e32 v8, 0x3e9e377a, v4
	s_delay_alu instid0(VALU_DEP_2) | instskip(NEXT) | instid1(VALU_DEP_1)
	v_dual_fmac_f32 v31, 0x3e9e377a, v4 :: v_dual_sub_f32 v4, v210, v206
	v_dual_add_f32 v4, v4, v5 :: v_dual_add_f32 v5, v206, v214
	s_delay_alu instid0(VALU_DEP_1) | instskip(NEXT) | instid1(VALU_DEP_1)
	v_fma_f32 v5, -0.5, v5, v202
	v_fmamk_f32 v6, v39, 0x3f737871, v5
	v_fmac_f32_e32 v5, 0xbf737871, v39
	s_delay_alu instid0(VALU_DEP_2) | instskip(NEXT) | instid1(VALU_DEP_2)
	v_fmac_f32_e32 v6, 0xbf167918, v35
	v_fmac_f32_e32 v5, 0x3f167918, v35
	s_delay_alu instid0(VALU_DEP_2) | instskip(NEXT) | instid1(VALU_DEP_2)
	v_dual_sub_f32 v35, v235, v231 :: v_dual_fmac_f32 v6, 0x3e9e377a, v4
	v_dual_fmac_f32 v5, 0x3e9e377a, v4 :: v_dual_sub_f32 v4, v211, v207
	s_delay_alu instid0(VALU_DEP_1) | instskip(SKIP_1) | instid1(VALU_DEP_1)
	v_add_f32_e32 v4, v4, v7
	v_add_f32_e32 v7, v207, v215
	v_fma_f32 v7, -0.5, v7, v203
	s_delay_alu instid0(VALU_DEP_1) | instskip(SKIP_1) | instid1(VALU_DEP_2)
	v_fmamk_f32 v10, v40, 0xbf737871, v7
	v_fmac_f32_e32 v7, 0x3f737871, v40
	v_fmac_f32_e32 v10, 0x3f167918, v50
	s_delay_alu instid0(VALU_DEP_2) | instskip(NEXT) | instid1(VALU_DEP_2)
	v_fmac_f32_e32 v7, 0xbf167918, v50
	v_fmac_f32_e32 v10, 0x3e9e377a, v4
	s_delay_alu instid0(VALU_DEP_2) | instskip(NEXT) | instid1(VALU_DEP_2)
	v_fmac_f32_e32 v7, 0x3e9e377a, v4
	v_dual_add_f32 v4, v0, v220 :: v_dual_mul_f32 v37, 0xbf737871, v10
	s_delay_alu instid0(VALU_DEP_2) | instskip(NEXT) | instid1(VALU_DEP_2)
	v_mul_f32_e32 v18, 0xbf737871, v7
	v_dual_add_f32 v4, v4, v224 :: v_dual_mul_f32 v19, 0xbe9e377a, v7
	v_dual_add_f32 v7, v225, v233 :: v_dual_mul_f32 v38, 0x3e9e377a, v10
	s_delay_alu instid0(VALU_DEP_2) | instskip(NEXT) | instid1(VALU_DEP_2)
	v_dual_fmac_f32 v37, 0x3e9e377a, v6 :: v_dual_add_f32 v4, v4, v232
	v_dual_fmac_f32 v19, 0x3f737871, v5 :: v_dual_fmac_f32 v38, 0x3f737871, v6
	s_delay_alu instid0(VALU_DEP_2) | instskip(SKIP_3) | instid1(VALU_DEP_4)
	v_dual_add_f32 v6, v203, v207 :: v_dual_add_f32 v41, v4, v228
	v_add_f32_e32 v4, v224, v232
	v_mov_b32_e32 v224, v249
	v_add_f32_e32 v10, v29, v37
	v_dual_add_f32 v6, v6, v211 :: v_dual_add_f32 v11, v8, v38
	s_delay_alu instid0(VALU_DEP_4) | instskip(SKIP_1) | instid1(VALU_DEP_3)
	v_fma_f32 v0, -0.5, v4, v0
	v_add_f32_e32 v13, v31, v19
	v_add_f32_e32 v6, v6, v219
	s_delay_alu instid0(VALU_DEP_3) | instskip(SKIP_2) | instid1(VALU_DEP_3)
	v_fmamk_f32 v42, v30, 0xbf737871, v0
	v_fmac_f32_e32 v0, 0x3f737871, v30
	v_sub_f32_e32 v30, v222, v230
	v_fmac_f32_e32 v42, 0xbf167918, v28
	s_delay_alu instid0(VALU_DEP_3)
	v_fmac_f32_e32 v0, 0x3f167918, v28
	v_sub_f32_e32 v28, v223, v231
	v_add_f32_e32 v4, v1, v221
	v_fma_f32 v1, -0.5, v7, v1
	v_fmac_f32_e32 v42, 0x3e9e377a, v255
	v_fmac_f32_e32 v0, 0x3e9e377a, v255
	s_delay_alu instid0(VALU_DEP_4) | instskip(NEXT) | instid1(VALU_DEP_4)
	v_add_f32_e32 v4, v4, v225
	v_fmamk_f32 v43, v36, 0x3f737871, v1
	s_delay_alu instid0(VALU_DEP_4) | instskip(NEXT) | instid1(VALU_DEP_3)
	v_dual_fmac_f32 v1, 0xbf737871, v36 :: v_dual_add_f32 v220, v42, v34
	v_add_f32_e32 v4, v4, v233
	s_delay_alu instid0(VALU_DEP_3) | instskip(NEXT) | instid1(VALU_DEP_3)
	v_fmac_f32_e32 v43, 0x3f167918, v9
	v_fmac_f32_e32 v1, 0xbf167918, v9
	s_delay_alu instid0(VALU_DEP_3) | instskip(NEXT) | instid1(VALU_DEP_3)
	v_add_f32_e32 v203, v4, v229
	v_fmac_f32_e32 v43, 0x3e9e377a, v252
	s_delay_alu instid0(VALU_DEP_3)
	v_fmac_f32_e32 v1, 0x3e9e377a, v252
	v_mov_b32_e32 v211, v14
	ds_load_2addr_b64 v[24:27], v14 offset0:68 offset1:149
	ds_load_2addr_b64 v[14:17], v251 offset0:16 offset1:97
	v_dual_fmac_f32 v18, 0xbe9e377a, v5 :: v_dual_add_f32 v5, v202, v206
	v_dual_add_f32 v206, v6, v215 :: v_dual_mov_b32 v215, v251
	v_add_f32_e32 v221, v43, v33
	s_delay_alu instid0(VALU_DEP_3) | instskip(NEXT) | instid1(VALU_DEP_4)
	v_add_f32_e32 v12, v51, v18
	v_dual_add_f32 v5, v5, v210 :: v_dual_add_nc_u32 v210, 0x3400, v48
	s_delay_alu instid0(VALU_DEP_4) | instskip(NEXT) | instid1(VALU_DEP_2)
	v_add_f32_e32 v219, v203, v206
	v_add_f32_e32 v5, v5, v218
	ds_load_2addr_b64 v[248:251], v210 offset0:118 offset1:199
	v_add_f32_e32 v202, v5, v214
	v_add_nc_u32_e32 v214, 0x4400, v48
	ds_load_2addr_b64 v[4:7], v214 offset0:92 offset1:173
	s_waitcnt lgkmcnt(0)
	s_barrier
	buffer_gl0_inv
	scratch_load_b32 v207, off, off offset:252 ; 4-byte Folded Reload
	v_fmac_f32_e32 v32, 0xbf737871, v50
	s_delay_alu instid0(VALU_DEP_1) | instskip(NEXT) | instid1(VALU_DEP_1)
	v_fmac_f32_e32 v32, 0xbf167918, v40
	v_fmac_f32_e32 v32, 0x3e9e377a, v254
	v_sub_f32_e32 v40, v20, v4
	v_add_f32_e32 v218, v41, v202
	s_waitcnt vmcnt(0)
	ds_store_b128 v207, v[218:221]
	ds_store_b128 v207, v[10:13] offset:16
	v_mul_f32_e32 v12, 0xbf167918, v32
	v_dual_mul_f32 v13, 0xbf4f1bbd, v32 :: v_dual_sub_f32 v10, v41, v202
	v_sub_f32_e32 v11, v203, v206
	v_sub_f32_e32 v219, v43, v33
	s_delay_alu instid0(VALU_DEP_4) | instskip(NEXT) | instid1(VALU_DEP_4)
	v_fmac_f32_e32 v12, 0xbf4f1bbd, v253
	v_fmac_f32_e32 v13, 0x3f167918, v253
	v_sub_f32_e32 v43, v15, v249
	v_dual_sub_f32 v221, v8, v38 :: v_dual_sub_f32 v220, v29, v37
	s_delay_alu instid0(VALU_DEP_3)
	v_dual_add_f32 v8, v0, v12 :: v_dual_add_f32 v9, v1, v13
	v_add_f32_e32 v29, v222, v230
	v_sub_f32_e32 v218, v42, v34
	ds_store_b128 v207, v[8:11] offset:32
	ds_store_b128 v207, v[218:221] offset:48
	v_dual_sub_f32 v10, v0, v12 :: v_dual_sub_f32 v9, v31, v19
	v_sub_f32_e32 v11, v1, v13
	v_sub_f32_e32 v19, v226, v234
	v_sub_f32_e32 v8, v51, v18
	v_sub_f32_e32 v12, v223, v227
	v_sub_f32_e32 v32, v230, v234
	v_sub_f32_e32 v34, v231, v235
	v_sub_f32_e32 v42, v21, v5
	ds_store_b128 v207, v[8:11] offset:64
	v_sub_f32_e32 v9, v222, v226
	v_dual_sub_f32 v41, v14, v248 :: v_dual_add_f32 v34, v12, v34
	v_sub_f32_e32 v12, v4, v248
	v_sub_f32_e32 v10, v226, v222
	s_delay_alu instid0(VALU_DEP_4)
	v_dual_add_f32 v32, v9, v32 :: v_dual_sub_f32 v9, v20, v14
	v_add_f32_e32 v11, v227, v235
	v_add_f32_e32 v31, v223, v231
	v_sub_f32_e32 v33, v234, v230
	v_fma_f32 v29, -0.5, v29, v2
	v_add_f32_e32 v36, v9, v12
	v_sub_f32_e32 v9, v21, v15
	v_dual_sub_f32 v12, v5, v249 :: v_dual_add_f32 v1, v3, v223
	v_sub_f32_e32 v13, v227, v223
	s_delay_alu instid0(VALU_DEP_2) | instskip(SKIP_1) | instid1(VALU_DEP_4)
	v_add_f32_e32 v37, v9, v12
	v_add_f32_e32 v9, v15, v249
	;; [unrolled: 1-line block ×3, first 2 shown]
	s_delay_alu instid0(VALU_DEP_2) | instskip(SKIP_1) | instid1(VALU_DEP_3)
	v_fma_f32 v38, -0.5, v9, v25
	v_add_f32_e32 v9, v14, v248
	v_add_f32_e32 v1, v1, v235
	s_delay_alu instid0(VALU_DEP_2) | instskip(NEXT) | instid1(VALU_DEP_4)
	v_fma_f32 v39, -0.5, v9, v24
	v_dual_fmamk_f32 v9, v40, 0x3f737871, v38 :: v_dual_sub_f32 v18, v227, v235
	s_delay_alu instid0(VALU_DEP_3) | instskip(NEXT) | instid1(VALU_DEP_3)
	v_dual_fmac_f32 v38, 0xbf737871, v40 :: v_dual_add_f32 v1, v1, v231
	v_fmamk_f32 v12, v42, 0xbf737871, v39
	s_delay_alu instid0(VALU_DEP_3)
	v_fmac_f32_e32 v9, 0x3f167918, v41
	v_fmac_f32_e32 v39, 0x3f737871, v42
	v_add_f32_e32 v0, v2, v222
	v_fmac_f32_e32 v38, 0xbf167918, v41
	v_fmac_f32_e32 v12, 0xbf167918, v43
	;; [unrolled: 1-line block ×3, first 2 shown]
	s_delay_alu instid0(VALU_DEP_4) | instskip(NEXT) | instid1(VALU_DEP_4)
	v_dual_fmac_f32 v39, 0x3f167918, v43 :: v_dual_add_f32 v0, v0, v226
	v_fmac_f32_e32 v38, 0x3e9e377a, v37
	s_delay_alu instid0(VALU_DEP_4) | instskip(NEXT) | instid1(VALU_DEP_4)
	v_fmac_f32_e32 v12, 0x3e9e377a, v36
	v_mul_f32_e32 v49, 0xbf167918, v9
	s_delay_alu instid0(VALU_DEP_4) | instskip(NEXT) | instid1(VALU_DEP_3)
	v_dual_fmac_f32 v39, 0x3e9e377a, v36 :: v_dual_add_f32 v8, v226, v234
	v_dual_sub_f32 v37, v250, v6 :: v_dual_mul_f32 v50, 0x3f167918, v12
	s_delay_alu instid0(VALU_DEP_3) | instskip(NEXT) | instid1(VALU_DEP_3)
	v_dual_fmac_f32 v49, 0x3f4f1bbd, v12 :: v_dual_sub_f32 v12, v249, v5
	v_fma_f32 v2, -0.5, v8, v2
	v_add_f32_e32 v8, v24, v20
	s_delay_alu instid0(VALU_DEP_4)
	v_fmac_f32_e32 v50, 0x3f4f1bbd, v9
	v_add_f32_e32 v9, v10, v33
	v_fma_f32 v33, -0.5, v11, v3
	v_fmac_f32_e32 v3, -0.5, v31
	v_fmamk_f32 v31, v18, 0x3f737871, v29
	v_dual_fmac_f32 v29, 0xbf737871, v18 :: v_dual_sub_f32 v10, v248, v4
	v_add_f32_e32 v8, v8, v14
	s_delay_alu instid0(VALU_DEP_3) | instskip(NEXT) | instid1(VALU_DEP_3)
	v_dual_add_f32 v0, v0, v234 :: v_dual_fmac_f32 v31, 0xbf167918, v28
	v_dual_fmac_f32 v29, 0x3f167918, v28 :: v_dual_sub_f32 v36, v6, v250
	s_delay_alu instid0(VALU_DEP_3) | instskip(NEXT) | instid1(VALU_DEP_3)
	v_add_f32_e32 v8, v8, v248
	v_dual_add_f32 v0, v0, v230 :: v_dual_fmac_f32 v31, 0x3e9e377a, v9
	s_delay_alu instid0(VALU_DEP_3) | instskip(SKIP_3) | instid1(VALU_DEP_2)
	v_fmac_f32_e32 v29, 0x3e9e377a, v9
	v_add_f32_e32 v9, v13, v35
	v_fmamk_f32 v35, v19, 0xbf737871, v3
	v_fmac_f32_e32 v3, 0x3f737871, v19
	v_fmac_f32_e32 v35, 0x3f167918, v30
	s_delay_alu instid0(VALU_DEP_2) | instskip(NEXT) | instid1(VALU_DEP_2)
	v_fmac_f32_e32 v3, 0xbf167918, v30
	v_fmac_f32_e32 v35, 0x3e9e377a, v9
	s_delay_alu instid0(VALU_DEP_2) | instskip(SKIP_1) | instid1(VALU_DEP_1)
	v_fmac_f32_e32 v3, 0x3e9e377a, v9
	v_sub_f32_e32 v9, v14, v20
	v_dual_add_f32 v9, v9, v10 :: v_dual_add_f32 v10, v20, v4
	v_add_f32_e32 v4, v8, v4
	s_delay_alu instid0(VALU_DEP_2) | instskip(SKIP_3) | instid1(VALU_DEP_2)
	v_fma_f32 v10, -0.5, v10, v24
	scratch_load_b32 v24, off, off offset:368 ; 4-byte Folded Reload
	v_dual_add_f32 v8, v0, v4 :: v_dual_fmamk_f32 v11, v43, 0x3f737871, v10
	v_fmac_f32_e32 v10, 0xbf737871, v43
	v_fmac_f32_e32 v11, 0xbf167918, v42
	s_delay_alu instid0(VALU_DEP_2) | instskip(NEXT) | instid1(VALU_DEP_2)
	v_fmac_f32_e32 v10, 0x3f167918, v42
	v_fmac_f32_e32 v11, 0x3e9e377a, v9
	s_delay_alu instid0(VALU_DEP_2) | instskip(SKIP_1) | instid1(VALU_DEP_1)
	v_fmac_f32_e32 v10, 0x3e9e377a, v9
	v_sub_f32_e32 v9, v15, v21
	v_add_f32_e32 v9, v9, v12
	v_add_f32_e32 v12, v21, v5
	s_delay_alu instid0(VALU_DEP_1) | instskip(NEXT) | instid1(VALU_DEP_1)
	v_fma_f32 v12, -0.5, v12, v25
	v_fmamk_f32 v13, v41, 0xbf737871, v12
	v_fmac_f32_e32 v12, 0x3f737871, v41
	s_delay_alu instid0(VALU_DEP_2) | instskip(NEXT) | instid1(VALU_DEP_2)
	v_fmac_f32_e32 v13, 0x3f167918, v40
	v_fmac_f32_e32 v12, 0xbf167918, v40
	s_delay_alu instid0(VALU_DEP_2) | instskip(NEXT) | instid1(VALU_DEP_2)
	v_fmac_f32_e32 v13, 0x3e9e377a, v9
	v_fmac_f32_e32 v12, 0x3e9e377a, v9
	v_add_f32_e32 v9, v25, v21
	v_fmamk_f32 v21, v30, 0x3f737871, v33
	v_fmac_f32_e32 v33, 0xbf737871, v30
	v_mul_f32_e32 v51, 0xbf737871, v13
	s_delay_alu instid0(VALU_DEP_4) | instskip(NEXT) | instid1(VALU_DEP_4)
	v_dual_mul_f32 v202, 0x3e9e377a, v13 :: v_dual_add_f32 v9, v9, v15
	v_fmac_f32_e32 v21, 0x3f167918, v19
	s_delay_alu instid0(VALU_DEP_4) | instskip(SKIP_1) | instid1(VALU_DEP_4)
	v_fmac_f32_e32 v33, 0xbf167918, v19
	v_mul_f32_e32 v203, 0xbf737871, v12
	v_dual_mul_f32 v206, 0xbe9e377a, v12 :: v_dual_add_f32 v9, v9, v249
	s_delay_alu instid0(VALU_DEP_4) | instskip(NEXT) | instid1(VALU_DEP_4)
	v_fmac_f32_e32 v21, 0x3e9e377a, v34
	v_dual_fmac_f32 v33, 0x3e9e377a, v34 :: v_dual_sub_f32 v34, v23, v7
	s_delay_alu instid0(VALU_DEP_3) | instskip(SKIP_3) | instid1(VALU_DEP_4)
	v_dual_fmamk_f32 v20, v28, 0xbf737871, v2 :: v_dual_add_f32 v5, v9, v5
	v_fmac_f32_e32 v51, 0x3e9e377a, v11
	v_fmac_f32_e32 v202, 0x3f737871, v11
	;; [unrolled: 1-line block ×3, first 2 shown]
	v_dual_fmac_f32 v20, 0xbf167918, v18 :: v_dual_sub_f32 v19, v216, v212
	v_dual_fmac_f32 v206, 0x3f737871, v10 :: v_dual_add_f32 v9, v1, v5
	s_delay_alu instid0(VALU_DEP_2) | instskip(SKIP_2) | instid1(VALU_DEP_3)
	v_dual_add_f32 v11, v21, v50 :: v_dual_fmac_f32 v20, 0x3e9e377a, v32
	v_add_f32_e32 v12, v31, v51
	v_dual_add_f32 v14, v29, v203 :: v_dual_add_f32 v13, v35, v202
	v_dual_add_f32 v15, v3, v206 :: v_dual_add_f32 v10, v20, v49
	s_waitcnt vmcnt(0)
	ds_store_b128 v24, v[8:11]
	ds_store_b128 v24, v[12:15] offset:16
	v_sub_f32_e32 v11, v1, v5
	v_mul_f32_e32 v5, 0xbf4f1bbd, v38
	v_fmac_f32_e32 v2, 0x3f737871, v28
	v_sub_f32_e32 v14, v31, v51
	v_sub_f32_e32 v1, v3, v206
	;; [unrolled: 1-line block ×3, first 2 shown]
	s_delay_alu instid0(VALU_DEP_4) | instskip(SKIP_1) | instid1(VALU_DEP_2)
	v_dual_fmac_f32 v5, 0x3f167918, v39 :: v_dual_fmac_f32 v2, 0x3f167918, v18
	v_dual_sub_f32 v12, v20, v49 :: v_dual_sub_f32 v15, v35, v202
	v_dual_sub_f32 v18, v212, v216 :: v_dual_add_f32 v9, v33, v5
	v_sub_f32_e32 v3, v33, v5
	v_dual_add_f32 v5, v209, v217 :: v_dual_sub_f32 v10, v0, v4
	v_mul_f32_e32 v4, 0xbf167918, v38
	v_fmac_f32_e32 v2, 0x3e9e377a, v32
	v_sub_f32_e32 v0, v29, v203
	v_sub_f32_e32 v29, v17, v251
	s_delay_alu instid0(VALU_DEP_4) | instskip(SKIP_3) | instid1(VALU_DEP_4)
	v_dual_sub_f32 v13, v21, v50 :: v_dual_fmac_f32 v4, 0xbf4f1bbd, v39
	v_dual_add_f32 v32, v17, v251 :: v_dual_sub_f32 v33, v23, v17
	v_sub_f32_e32 v39, v251, v7
	v_add_f32_e32 v35, v22, v6
	v_add_f32_e32 v8, v2, v4
	ds_store_b128 v24, v[8:11] offset:32
	ds_store_b128 v24, v[12:15] offset:48
	v_sub_f32_e32 v14, v204, v212
	v_sub_f32_e32 v2, v2, v4
	;; [unrolled: 1-line block ×3, first 2 shown]
	v_add_f32_e32 v28, v16, v250
	v_sub_f32_e32 v30, v22, v16
	v_fma_f32 v32, -0.5, v32, v27
	ds_store_b128 v24, v[0:3] offset:64
	v_dual_add_f32 v1, v201, v205 :: v_dual_add_f32 v0, v200, v204
	v_sub_f32_e32 v3, v204, v208
	v_dual_sub_f32 v9, v208, v216 :: v_dual_sub_f32 v10, v205, v209
	s_delay_alu instid0(VALU_DEP_3) | instskip(NEXT) | instid1(VALU_DEP_3)
	v_dual_add_f32 v1, v1, v209 :: v_dual_add_f32 v0, v0, v208
	v_add_f32_e32 v18, v3, v18
	v_dual_sub_f32 v20, v213, v217 :: v_dual_add_f32 v13, v204, v212
	s_delay_alu instid0(VALU_DEP_3) | instskip(NEXT) | instid1(VALU_DEP_2)
	v_dual_add_f32 v1, v1, v217 :: v_dual_add_f32 v0, v0, v216
	v_dual_add_f32 v15, v205, v213 :: v_dual_add_f32 v10, v10, v20
	s_delay_alu instid0(VALU_DEP_2)
	v_dual_add_f32 v20, v30, v36 :: v_dual_add_f32 v25, v1, v213
	v_add_f32_e32 v1, v27, v23
	v_fma_f32 v13, -0.5, v13, v200
	v_sub_f32_e32 v11, v209, v205
	v_sub_f32_e32 v21, v217, v213
	v_add_nc_u32_e32 v203, 0x1c00, v48
	v_add_f32_e32 v1, v1, v17
	v_sub_f32_e32 v17, v17, v23
	v_dual_add_f32 v23, v23, v7 :: v_dual_add_nc_u32 v206, 0x2000, v48
	s_delay_alu instid0(VALU_DEP_3) | instskip(NEXT) | instid1(VALU_DEP_2)
	v_dual_add_f32 v1, v1, v251 :: v_dual_add_nc_u32 v202, 0x3800, v48
	v_fmac_f32_e32 v27, -0.5, v23
	s_delay_alu instid0(VALU_DEP_2) | instskip(SKIP_2) | instid1(VALU_DEP_2)
	v_dual_add_f32 v41, v1, v7 :: v_dual_add_f32 v24, v0, v212
	v_add_f32_e32 v0, v26, v22
	v_sub_f32_e32 v22, v22, v6
	v_add_f32_e32 v0, v0, v16
	s_delay_alu instid0(VALU_DEP_2) | instskip(NEXT) | instid1(VALU_DEP_2)
	v_dual_sub_f32 v16, v16, v250 :: v_dual_fmamk_f32 v3, v22, 0x3f737871, v32
	v_add_f32_e32 v0, v0, v250
	s_delay_alu instid0(VALU_DEP_2) | instskip(SKIP_1) | instid1(VALU_DEP_3)
	v_fmamk_f32 v1, v16, 0xbf737871, v27
	v_fmac_f32_e32 v27, 0x3f737871, v16
	v_dual_fmac_f32 v3, 0x3f167918, v16 :: v_dual_add_f32 v40, v0, v6
	v_add_f32_e32 v0, v17, v39
	v_fma_f32 v17, -0.5, v28, v26
	s_delay_alu instid0(VALU_DEP_4) | instskip(SKIP_2) | instid1(VALU_DEP_4)
	v_dual_sub_f32 v38, v7, v251 :: v_dual_fmac_f32 v27, 0xbf167918, v22
	v_fma_f32 v6, -0.5, v35, v26
	v_fmac_f32_e32 v1, 0x3f167918, v22
	v_dual_fmamk_f32 v7, v34, 0xbf737871, v17 :: v_dual_sub_f32 v8, v209, v217
	s_delay_alu instid0(VALU_DEP_4) | instskip(NEXT) | instid1(VALU_DEP_3)
	v_fmac_f32_e32 v27, 0x3e9e377a, v0
	v_fmac_f32_e32 v1, 0x3e9e377a, v0
	s_delay_alu instid0(VALU_DEP_3) | instskip(SKIP_1) | instid1(VALU_DEP_4)
	v_fmac_f32_e32 v7, 0xbf167918, v29
	v_fmamk_f32 v0, v29, 0x3f737871, v6
	v_mul_f32_e32 v23, 0xbf737871, v27
	v_dual_mul_f32 v26, 0xbe9e377a, v27 :: v_dual_add_f32 v27, v33, v38
	s_delay_alu instid0(VALU_DEP_4)
	v_fmac_f32_e32 v7, 0x3e9e377a, v20
	v_sub_f32_e32 v4, v208, v204
	v_add_f32_e32 v2, v208, v216
	v_fmac_f32_e32 v0, 0xbf167918, v34
	v_fmac_f32_e32 v3, 0x3e9e377a, v27
	v_mul_f32_e32 v30, 0x3f167918, v7
	v_fmac_f32_e32 v6, 0xbf737871, v29
	s_delay_alu instid0(VALU_DEP_3) | instskip(NEXT) | instid1(VALU_DEP_3)
	v_mul_f32_e32 v28, 0xbf167918, v3
	v_fmac_f32_e32 v30, 0x3f4f1bbd, v3
	v_add_f32_e32 v3, v4, v19
	v_fma_f32 v19, -0.5, v5, v201
	v_fmac_f32_e32 v201, -0.5, v15
	v_fmamk_f32 v15, v8, 0x3f737871, v13
	v_fmac_f32_e32 v13, 0xbf737871, v8
	v_fmac_f32_e32 v6, 0x3f167918, v34
	;; [unrolled: 1-line block ×3, first 2 shown]
	s_delay_alu instid0(VALU_DEP_4) | instskip(NEXT) | instid1(VALU_DEP_4)
	v_fmac_f32_e32 v15, 0xbf167918, v12
	v_fmac_f32_e32 v13, 0x3f167918, v12
	s_delay_alu instid0(VALU_DEP_2) | instskip(NEXT) | instid1(VALU_DEP_2)
	v_fmac_f32_e32 v15, 0x3e9e377a, v3
	v_fmac_f32_e32 v13, 0x3e9e377a, v3
	v_add_f32_e32 v3, v11, v21
	v_fmamk_f32 v11, v9, 0xbf737871, v201
	v_fmac_f32_e32 v201, 0x3f737871, v9
	v_mul_f32_e32 v21, 0xbf737871, v1
	s_delay_alu instid0(VALU_DEP_3) | instskip(NEXT) | instid1(VALU_DEP_3)
	v_fmac_f32_e32 v11, 0x3f167918, v14
	v_fmac_f32_e32 v201, 0xbf167918, v14
	s_delay_alu instid0(VALU_DEP_2) | instskip(NEXT) | instid1(VALU_DEP_2)
	v_fmac_f32_e32 v11, 0x3e9e377a, v3
	v_fmac_f32_e32 v201, 0x3e9e377a, v3
	v_add_f32_e32 v3, v31, v37
	scratch_load_b32 v37, off, off offset:288 ; 4-byte Folded Reload
	v_mul_f32_e32 v31, 0x3e9e377a, v1
	v_fma_f32 v33, -0.5, v2, v200
	v_dual_add_f32 v1, v25, v41 :: v_dual_fmac_f32 v0, 0x3e9e377a, v3
	v_fmac_f32_e32 v6, 0x3e9e377a, v3
	s_delay_alu instid0(VALU_DEP_2) | instskip(NEXT) | instid1(VALU_DEP_4)
	v_fmac_f32_e32 v31, 0x3f737871, v0
	v_fmamk_f32 v35, v12, 0xbf737871, v33
	v_fmac_f32_e32 v33, 0x3f737871, v12
	v_fmac_f32_e32 v21, 0x3e9e377a, v0
	;; [unrolled: 1-line block ×5, first 2 shown]
	s_delay_alu instid0(VALU_DEP_4) | instskip(NEXT) | instid1(VALU_DEP_4)
	v_dual_fmac_f32 v33, 0x3f167918, v8 :: v_dual_add_f32 v4, v15, v21
	v_add_f32_e32 v6, v13, v23
	v_add_f32_e32 v5, v11, v31
	s_delay_alu instid0(VALU_DEP_4) | instskip(SKIP_2) | instid1(VALU_DEP_3)
	v_fmac_f32_e32 v35, 0x3e9e377a, v18
	v_fmamk_f32 v36, v14, 0x3f737871, v19
	v_fmac_f32_e32 v19, 0xbf737871, v14
	v_dual_add_f32 v7, v201, v26 :: v_dual_add_f32 v2, v35, v28
	s_delay_alu instid0(VALU_DEP_3) | instskip(NEXT) | instid1(VALU_DEP_3)
	v_fmac_f32_e32 v36, 0x3f167918, v9
	v_fmac_f32_e32 v19, 0xbf167918, v9
	;; [unrolled: 1-line block ×3, first 2 shown]
	s_delay_alu instid0(VALU_DEP_3) | instskip(NEXT) | instid1(VALU_DEP_3)
	v_fmac_f32_e32 v36, 0x3e9e377a, v10
	v_fmac_f32_e32 v19, 0x3e9e377a, v10
	s_delay_alu instid0(VALU_DEP_2) | instskip(NEXT) | instid1(VALU_DEP_1)
	v_dual_fmac_f32 v32, 0xbf167918, v16 :: v_dual_add_f32 v3, v36, v30
	v_fmac_f32_e32 v32, 0x3e9e377a, v27
	s_delay_alu instid0(VALU_DEP_1)
	v_mul_f32_e32 v9, 0xbf4f1bbd, v32
	v_add_f32_e32 v0, v24, v40
	s_waitcnt vmcnt(0)
	ds_store_b128 v37, v[0:3]
	ds_store_b128 v37, v[4:7] offset:16
	v_sub_f32_e32 v5, v36, v30
	v_fmac_f32_e32 v17, 0x3f737871, v34
	v_dual_mul_f32 v8, 0xbf167918, v32 :: v_dual_sub_f32 v3, v25, v41
	v_sub_f32_e32 v2, v24, v40
	s_delay_alu instid0(VALU_DEP_3) | instskip(SKIP_2) | instid1(VALU_DEP_3)
	v_dual_sub_f32 v4, v35, v28 :: v_dual_fmac_f32 v17, 0x3f167918, v29
	v_sub_f32_e32 v6, v15, v21
	v_sub_f32_e32 v7, v11, v31
	v_fmac_f32_e32 v17, 0x3e9e377a, v20
	s_delay_alu instid0(VALU_DEP_1) | instskip(SKIP_2) | instid1(VALU_DEP_1)
	v_fmac_f32_e32 v8, 0xbf4f1bbd, v17
	v_fmac_f32_e32 v9, 0x3f167918, v17
	;; [unrolled: 1-line block ×3, first 2 shown]
	v_dual_add_f32 v1, v19, v9 :: v_dual_add_f32 v0, v33, v8
	ds_store_b128 v37, v[0:3] offset:32
	ds_store_b128 v37, v[4:7] offset:48
	v_sub_f32_e32 v1, v201, v26
	v_sub_f32_e32 v0, v13, v23
	v_dual_sub_f32 v2, v33, v8 :: v_dual_sub_f32 v3, v19, v9
	v_add_nc_u32_e32 v201, 0x3000, v48
	ds_store_b128 v37, v[0:3] offset:64
	s_waitcnt lgkmcnt(0)
	s_barrier
	buffer_gl0_inv
	scratch_load_b128 v[9:12], off, off offset:272 ; 16-byte Folded Reload
	ds_load_2addr_b64 v[0:3], v224 offset0:42 offset1:123
	ds_load_2addr_b64 v[4:7], v201 offset0:84 offset1:165
	s_waitcnt vmcnt(0) lgkmcnt(1)
	v_mul_f32_e32 v8, v10, v1
	s_delay_alu instid0(VALU_DEP_1) | instskip(SKIP_3) | instid1(VALU_DEP_2)
	v_fmac_f32_e32 v8, v9, v0
	v_mul_f32_e32 v0, v10, v0
	s_waitcnt lgkmcnt(0)
	v_mul_f32_e32 v10, v12, v5
	v_fma_f32 v9, v9, v1, -v0
	v_mul_f32_e32 v0, v12, v4
	scratch_load_b128 v[12:15], off, off offset:256 ; 16-byte Folded Reload
	v_fmac_f32_e32 v10, v11, v4
	v_fma_f32 v11, v11, v5, -v0
	s_waitcnt vmcnt(0)
	v_mul_f32_e32 v0, v13, v2
	v_mul_f32_e32 v26, v15, v7
	s_delay_alu instid0(VALU_DEP_2) | instskip(SKIP_1) | instid1(VALU_DEP_3)
	v_fma_f32 v25, v12, v3, -v0
	v_mul_f32_e32 v0, v15, v6
	v_fmac_f32_e32 v26, v14, v6
	s_delay_alu instid0(VALU_DEP_2) | instskip(SKIP_4) | instid1(VALU_DEP_2)
	v_fma_f32 v27, v14, v7, -v0
	ds_load_2addr_b64 v[4:7], v210 offset0:118 offset1:199
	s_waitcnt lgkmcnt(0)
	v_mul_f32_e32 v30, v175, v5
	v_mul_f32_e32 v34, v171, v7
	v_fmac_f32_e32 v30, v174, v4
	v_mul_f32_e32 v24, v13, v3
	s_delay_alu instid0(VALU_DEP_3) | instskip(NEXT) | instid1(VALU_DEP_2)
	v_fmac_f32_e32 v34, v170, v6
	v_fmac_f32_e32 v24, v12, v2
	ds_load_2addr_b64 v[0:3], v203 offset0:76 offset1:157
	s_waitcnt lgkmcnt(0)
	v_mul_f32_e32 v28, v173, v1
	v_mul_f32_e32 v32, v169, v3
	s_delay_alu instid0(VALU_DEP_2) | instskip(NEXT) | instid1(VALU_DEP_2)
	v_fmac_f32_e32 v28, v172, v0
	v_fmac_f32_e32 v32, v168, v2
	v_mul_f32_e32 v0, v173, v0
	s_delay_alu instid0(VALU_DEP_1) | instskip(SKIP_1) | instid1(VALU_DEP_1)
	v_fma_f32 v29, v172, v1, -v0
	v_mul_f32_e32 v0, v175, v4
	v_fma_f32 v31, v174, v5, -v0
	v_mul_f32_e32 v0, v169, v2
	s_delay_alu instid0(VALU_DEP_1) | instskip(SKIP_1) | instid1(VALU_DEP_1)
	v_fma_f32 v33, v168, v3, -v0
	v_mul_f32_e32 v0, v171, v6
	v_fma_f32 v35, v170, v7, -v0
	ds_load_2addr_b64 v[0:3], v206 offset0:110 offset1:191
	ds_load_2addr_b64 v[4:7], v202 offset0:152 offset1:233
	s_waitcnt lgkmcnt(1)
	v_mul_f32_e32 v40, v177, v3
	s_waitcnt lgkmcnt(0)
	v_mul_f32_e32 v42, v179, v7
	v_mul_f32_e32 v38, v183, v5
	s_delay_alu instid0(VALU_DEP_3) | instskip(NEXT) | instid1(VALU_DEP_3)
	v_fmac_f32_e32 v40, v176, v2
	v_fmac_f32_e32 v42, v178, v6
	v_mul_f32_e32 v36, v181, v1
	s_delay_alu instid0(VALU_DEP_1) | instskip(SKIP_2) | instid1(VALU_DEP_2)
	v_fmac_f32_e32 v36, v180, v0
	v_mul_f32_e32 v0, v181, v0
	v_sub_f32_e32 v181, v9, v11
	v_fma_f32 v37, v180, v1, -v0
	v_mul_f32_e32 v0, v183, v4
	s_delay_alu instid0(VALU_DEP_1) | instskip(SKIP_1) | instid1(VALU_DEP_1)
	v_fma_f32 v39, v182, v5, -v0
	v_mul_f32_e32 v0, v177, v2
	v_fma_f32 v41, v176, v3, -v0
	v_mul_f32_e32 v0, v179, v6
	s_delay_alu instid0(VALU_DEP_1) | instskip(SKIP_4) | instid1(VALU_DEP_2)
	v_fma_f32 v43, v178, v7, -v0
	ds_load_2addr_b64 v[0:3], v215 offset0:16 offset1:97
	s_waitcnt lgkmcnt(0)
	v_mul_f32_e32 v49, v189, v1
	v_mul_f32_e32 v169, v185, v3
	v_fmac_f32_e32 v49, v188, v0
	v_mul_f32_e32 v0, v189, v0
	s_delay_alu instid0(VALU_DEP_3) | instskip(SKIP_1) | instid1(VALU_DEP_3)
	v_dual_fmac_f32 v38, v182, v4 :: v_dual_fmac_f32 v169, v184, v2
	v_dual_sub_f32 v182, v8, v10 :: v_dual_add_nc_u32 v189, 0x1000, v48
	v_fma_f32 v50, v188, v1, -v0
	v_add_nc_u32_e32 v188, 0x4000, v48
	ds_load_2addr_b64 v[4:7], v188 offset0:58 offset1:139
	s_waitcnt lgkmcnt(0)
	v_mul_f32_e32 v0, v191, v4
	v_mul_f32_e32 v51, v191, v5
	v_mul_f32_e32 v171, v187, v7
	s_delay_alu instid0(VALU_DEP_3) | instskip(NEXT) | instid1(VALU_DEP_3)
	v_fma_f32 v168, v190, v5, -v0
	v_dual_mul_f32 v0, v185, v2 :: v_dual_fmac_f32 v51, v190, v4
	s_delay_alu instid0(VALU_DEP_3) | instskip(NEXT) | instid1(VALU_DEP_2)
	v_fmac_f32_e32 v171, v186, v6
	v_fma_f32 v170, v184, v3, -v0
	v_mul_f32_e32 v0, v187, v6
	v_add_nc_u32_e32 v184, 0x2c00, v48
	s_delay_alu instid0(VALU_DEP_2)
	v_fma_f32 v172, v186, v7, -v0
	ds_load_2addr_b64 v[0:3], v184 offset0:50 offset1:131
	ds_load_2addr_b64 v[4:7], v214 offset0:92 offset1:173
	s_waitcnt lgkmcnt(1)
	v_dual_mul_f32 v173, v197, v1 :: v_dual_add_nc_u32 v186, 0xc00, v48
	v_mul_f32_e32 v177, v193, v3
	s_waitcnt lgkmcnt(0)
	v_mul_f32_e32 v179, v195, v7
	v_mul_f32_e32 v175, v199, v5
	v_fmac_f32_e32 v173, v196, v0
	v_dual_mul_f32 v0, v197, v0 :: v_dual_fmac_f32 v177, v192, v2
	s_delay_alu instid0(VALU_DEP_4) | instskip(NEXT) | instid1(VALU_DEP_4)
	v_fmac_f32_e32 v179, v194, v6
	v_fmac_f32_e32 v175, v198, v4
	s_delay_alu instid0(VALU_DEP_3) | instskip(SKIP_1) | instid1(VALU_DEP_1)
	v_fma_f32 v174, v196, v1, -v0
	v_mul_f32_e32 v0, v199, v4
	v_fma_f32 v176, v198, v5, -v0
	v_mul_f32_e32 v0, v193, v2
	s_delay_alu instid0(VALU_DEP_1) | instskip(SKIP_1) | instid1(VALU_DEP_1)
	v_fma_f32 v178, v192, v3, -v0
	v_mul_f32_e32 v0, v195, v6
	v_fma_f32 v180, v194, v7, -v0
	ds_load_2addr_b64 v[0:3], v48 offset1:81
	s_waitcnt lgkmcnt(0)
	v_dual_add_f32 v4, v0, v8 :: v_dual_add_f32 v5, v1, v9
	s_delay_alu instid0(VALU_DEP_1) | instskip(SKIP_1) | instid1(VALU_DEP_1)
	v_dual_add_f32 v20, v4, v10 :: v_dual_add_f32 v21, v5, v11
	v_dual_add_f32 v4, v9, v11 :: v_dual_add_f32 v5, v8, v10
	v_fma_f32 v1, -0.5, v4, v1
	s_delay_alu instid0(VALU_DEP_2)
	v_fma_f32 v0, -0.5, v5, v0
	ds_load_2addr_b64 v[4:7], v48 offset0:162 offset1:243
	ds_load_2addr_b64 v[8:11], v211 offset0:68 offset1:149
	;; [unrolled: 1-line block ×4, first 2 shown]
	s_waitcnt lgkmcnt(0)
	s_barrier
	buffer_gl0_inv
	scratch_load_b32 v185, off, off offset:544 ; 4-byte Folded Reload
	v_fmamk_f32 v22, v181, 0xbf5db3d7, v0
	v_dual_fmamk_f32 v23, v182, 0x3f5db3d7, v1 :: v_dual_fmac_f32 v0, 0x3f5db3d7, v181
	v_fmac_f32_e32 v1, 0xbf5db3d7, v182
	s_waitcnt vmcnt(0)
	ds_store_2addr_b64 v185, v[20:21], v[22:23] offset1:10
	ds_store_b64 v185, v[0:1] offset:160
	v_dual_add_f32 v0, v24, v26 :: v_dual_add_f32 v1, v2, v24
	v_sub_f32_e32 v23, v24, v26
	scratch_load_b32 v24, off, off offset:540 ; 4-byte Folded Reload
	v_add_f32_e32 v20, v3, v25
	v_fma_f32 v2, -0.5, v0, v2
	v_add_f32_e32 v0, v1, v26
	v_sub_f32_e32 v22, v25, v27
	s_delay_alu instid0(VALU_DEP_4) | instskip(SKIP_1) | instid1(VALU_DEP_1)
	v_add_f32_e32 v1, v20, v27
	v_add_f32_e32 v20, v25, v27
	v_dual_fmac_f32 v3, -0.5, v20 :: v_dual_fmamk_f32 v20, v22, 0xbf5db3d7, v2
	v_fmac_f32_e32 v2, 0x3f5db3d7, v22
	scratch_load_b32 v22, off, off offset:536 ; 4-byte Folded Reload
	v_fmamk_f32 v21, v23, 0x3f5db3d7, v3
	v_fmac_f32_e32 v3, 0xbf5db3d7, v23
	s_waitcnt vmcnt(1)
	ds_store_b64 v24, v[2:3] offset:160
	v_add_f32_e32 v2, v28, v30
	ds_store_2addr_b64 v24, v[0:1], v[20:21] offset1:10
	v_sub_f32_e32 v20, v29, v31
	v_dual_add_f32 v0, v4, v28 :: v_dual_add_f32 v3, v29, v31
	v_fma_f32 v2, -0.5, v2, v4
	v_add_f32_e32 v1, v5, v29
	v_sub_f32_e32 v21, v28, v30
	s_delay_alu instid0(VALU_DEP_4)
	v_add_f32_e32 v0, v0, v30
	v_fma_f32 v3, -0.5, v3, v5
	v_fmamk_f32 v4, v20, 0xbf5db3d7, v2
	v_fmac_f32_e32 v2, 0x3f5db3d7, v20
	scratch_load_b32 v20, off, off offset:532 ; 4-byte Folded Reload
	v_add_f32_e32 v1, v1, v31
	v_fmamk_f32 v5, v21, 0x3f5db3d7, v3
	v_fmac_f32_e32 v3, 0xbf5db3d7, v21
	s_waitcnt vmcnt(1)
	ds_store_2addr_b64 v22, v[0:1], v[4:5] offset1:10
	ds_store_b64 v22, v[2:3] offset:160
	v_dual_add_f32 v0, v32, v34 :: v_dual_add_f32 v1, v6, v32
	v_add_f32_e32 v2, v7, v33
	v_dual_sub_f32 v4, v33, v35 :: v_dual_sub_f32 v5, v32, v34
	s_delay_alu instid0(VALU_DEP_3) | instskip(NEXT) | instid1(VALU_DEP_3)
	v_fma_f32 v6, -0.5, v0, v6
	v_dual_add_f32 v0, v1, v34 :: v_dual_add_f32 v1, v2, v35
	v_add_f32_e32 v2, v33, v35
	s_delay_alu instid0(VALU_DEP_1) | instskip(NEXT) | instid1(VALU_DEP_1)
	v_dual_fmac_f32 v7, -0.5, v2 :: v_dual_fmamk_f32 v2, v4, 0xbf5db3d7, v6
	v_dual_fmac_f32 v6, 0x3f5db3d7, v4 :: v_dual_fmamk_f32 v3, v5, 0x3f5db3d7, v7
	v_fmac_f32_e32 v7, 0xbf5db3d7, v5
	s_waitcnt vmcnt(0)
	ds_store_2addr_b64 v20, v[0:1], v[2:3] offset1:10
	v_add_f32_e32 v3, v37, v39
	ds_store_b64 v20, v[6:7] offset:160
	v_sub_f32_e32 v7, v36, v38
	v_add_f32_e32 v0, v8, v36
	v_sub_f32_e32 v6, v37, v39
	v_fma_f32 v3, -0.5, v3, v9
	v_add_f32_e32 v1, v9, v37
	s_delay_alu instid0(VALU_DEP_2) | instskip(SKIP_2) | instid1(VALU_DEP_4)
	v_fmamk_f32 v5, v7, 0x3f5db3d7, v3
	v_fmac_f32_e32 v3, 0xbf5db3d7, v7
	v_dual_sub_f32 v7, v49, v51 :: v_dual_add_f32 v2, v36, v38
	v_dual_add_f32 v0, v0, v38 :: v_dual_add_f32 v1, v1, v39
	s_delay_alu instid0(VALU_DEP_2)
	v_fma_f32 v2, -0.5, v2, v8
	scratch_load_b32 v8, off, off offset:528 ; 4-byte Folded Reload
	v_fmamk_f32 v4, v6, 0xbf5db3d7, v2
	v_fmac_f32_e32 v2, 0x3f5db3d7, v6
	scratch_load_b32 v6, off, off offset:524 ; 4-byte Folded Reload
	s_waitcnt vmcnt(1)
	ds_store_2addr_b64 v8, v[0:1], v[4:5] offset1:10
	ds_store_b64 v8, v[2:3] offset:160
	scratch_load_b32 v8, off, off offset:520 ; 4-byte Folded Reload
	v_dual_add_f32 v0, v40, v42 :: v_dual_add_f32 v1, v10, v40
	v_add_f32_e32 v2, v11, v41
	v_dual_sub_f32 v4, v41, v43 :: v_dual_sub_f32 v5, v40, v42
	s_delay_alu instid0(VALU_DEP_3) | instskip(NEXT) | instid1(VALU_DEP_3)
	v_fma_f32 v10, -0.5, v0, v10
	v_dual_add_f32 v0, v1, v42 :: v_dual_add_f32 v1, v2, v43
	v_add_f32_e32 v2, v41, v43
	s_delay_alu instid0(VALU_DEP_1) | instskip(NEXT) | instid1(VALU_DEP_1)
	v_dual_fmac_f32 v11, -0.5, v2 :: v_dual_fmamk_f32 v2, v4, 0xbf5db3d7, v10
	v_dual_fmac_f32 v10, 0x3f5db3d7, v4 :: v_dual_fmamk_f32 v3, v5, 0x3f5db3d7, v11
	v_fmac_f32_e32 v11, 0xbf5db3d7, v5
	s_waitcnt vmcnt(1)
	ds_store_2addr_b64 v6, v[0:1], v[2:3] offset1:10
	v_add_f32_e32 v2, v49, v51
	ds_store_b64 v6, v[10:11] offset:160
	v_sub_f32_e32 v6, v50, v168
	v_dual_add_f32 v3, v50, v168 :: v_dual_add_f32 v0, v12, v49
	v_fma_f32 v2, -0.5, v2, v12
	v_add_f32_e32 v1, v13, v50
	s_delay_alu instid0(VALU_DEP_3) | instskip(NEXT) | instid1(VALU_DEP_4)
	v_fma_f32 v3, -0.5, v3, v13
	v_add_f32_e32 v0, v0, v51
	s_delay_alu instid0(VALU_DEP_4)
	v_fmamk_f32 v4, v6, 0xbf5db3d7, v2
	v_fmac_f32_e32 v2, 0x3f5db3d7, v6
	scratch_load_b32 v6, off, off offset:516 ; 4-byte Folded Reload
	v_add_f32_e32 v1, v1, v168
	v_fmamk_f32 v5, v7, 0x3f5db3d7, v3
	v_fmac_f32_e32 v3, 0xbf5db3d7, v7
	v_sub_f32_e32 v7, v173, v175
	s_waitcnt vmcnt(1)
	ds_store_2addr_b64 v8, v[0:1], v[4:5] offset1:10
	ds_store_b64 v8, v[2:3] offset:160
	scratch_load_b32 v8, off, off offset:512 ; 4-byte Folded Reload
	v_dual_add_f32 v0, v169, v171 :: v_dual_add_f32 v1, v14, v169
	v_add_f32_e32 v2, v15, v170
	v_dual_sub_f32 v4, v170, v172 :: v_dual_sub_f32 v5, v169, v171
	s_delay_alu instid0(VALU_DEP_3) | instskip(NEXT) | instid1(VALU_DEP_3)
	v_fma_f32 v14, -0.5, v0, v14
	v_dual_add_f32 v0, v1, v171 :: v_dual_add_f32 v1, v2, v172
	v_add_f32_e32 v2, v170, v172
	s_delay_alu instid0(VALU_DEP_1) | instskip(NEXT) | instid1(VALU_DEP_1)
	v_dual_fmac_f32 v15, -0.5, v2 :: v_dual_fmamk_f32 v2, v4, 0xbf5db3d7, v14
	v_dual_fmac_f32 v14, 0x3f5db3d7, v4 :: v_dual_fmamk_f32 v3, v5, 0x3f5db3d7, v15
	v_fmac_f32_e32 v15, 0xbf5db3d7, v5
	s_waitcnt vmcnt(1)
	ds_store_2addr_b64 v6, v[0:1], v[2:3] offset1:10
	v_add_f32_e32 v2, v173, v175
	ds_store_b64 v6, v[14:15] offset:160
	v_sub_f32_e32 v6, v174, v176
	v_dual_add_f32 v3, v174, v176 :: v_dual_add_f32 v0, v16, v173
	v_fma_f32 v2, -0.5, v2, v16
	v_add_f32_e32 v1, v17, v174
	s_delay_alu instid0(VALU_DEP_3) | instskip(NEXT) | instid1(VALU_DEP_4)
	v_fma_f32 v3, -0.5, v3, v17
	v_add_f32_e32 v0, v0, v175
	s_delay_alu instid0(VALU_DEP_4)
	v_fmamk_f32 v4, v6, 0xbf5db3d7, v2
	v_fmac_f32_e32 v2, 0x3f5db3d7, v6
	scratch_load_b32 v6, off, off offset:508 ; 4-byte Folded Reload
	v_add_f32_e32 v1, v1, v176
	v_fmamk_f32 v5, v7, 0x3f5db3d7, v3
	v_fmac_f32_e32 v3, 0xbf5db3d7, v7
	s_waitcnt vmcnt(1)
	ds_store_2addr_b64 v8, v[0:1], v[4:5] offset1:10
	ds_store_b64 v8, v[2:3] offset:160
	v_dual_add_f32 v0, v177, v179 :: v_dual_add_f32 v1, v18, v177
	v_add_f32_e32 v2, v19, v178
	v_dual_sub_f32 v4, v178, v180 :: v_dual_sub_f32 v5, v177, v179
	s_delay_alu instid0(VALU_DEP_3) | instskip(NEXT) | instid1(VALU_DEP_3)
	v_fma_f32 v18, -0.5, v0, v18
	v_dual_add_f32 v0, v1, v179 :: v_dual_add_f32 v1, v2, v180
	v_add_f32_e32 v2, v178, v180
	s_delay_alu instid0(VALU_DEP_1) | instskip(NEXT) | instid1(VALU_DEP_1)
	v_dual_fmac_f32 v19, -0.5, v2 :: v_dual_fmamk_f32 v2, v4, 0xbf5db3d7, v18
	v_dual_fmac_f32 v18, 0x3f5db3d7, v4 :: v_dual_fmamk_f32 v3, v5, 0x3f5db3d7, v19
	v_fmac_f32_e32 v19, 0xbf5db3d7, v5
	s_waitcnt vmcnt(0)
	ds_store_2addr_b64 v6, v[0:1], v[2:3] offset1:10
	ds_store_b64 v6, v[18:19] offset:160
	s_waitcnt lgkmcnt(0)
	s_barrier
	buffer_gl0_inv
	ds_load_2addr_b64 v[0:3], v224 offset0:42 offset1:123
	ds_load_2addr_b64 v[4:7], v201 offset0:84 offset1:165
	s_waitcnt lgkmcnt(1)
	v_mul_f32_e32 v8, v133, v1
	v_mul_f32_e32 v24, v129, v3
	s_waitcnt lgkmcnt(0)
	v_mul_f32_e32 v10, v135, v5
	v_mul_f32_e32 v26, v131, v7
	v_fmac_f32_e32 v8, v132, v0
	v_mul_f32_e32 v0, v133, v0
	v_fmac_f32_e32 v24, v128, v2
	v_fmac_f32_e32 v10, v134, v4
	;; [unrolled: 1-line block ×3, first 2 shown]
	s_delay_alu instid0(VALU_DEP_4) | instskip(SKIP_1) | instid1(VALU_DEP_1)
	v_fma_f32 v9, v132, v1, -v0
	v_mul_f32_e32 v0, v135, v4
	v_fma_f32 v11, v134, v5, -v0
	v_mul_f32_e32 v0, v129, v2
	s_delay_alu instid0(VALU_DEP_1) | instskip(SKIP_1) | instid1(VALU_DEP_1)
	v_fma_f32 v25, v128, v3, -v0
	v_mul_f32_e32 v0, v131, v6
	v_fma_f32 v27, v130, v7, -v0
	ds_load_2addr_b64 v[0:3], v203 offset0:76 offset1:157
	ds_load_2addr_b64 v[4:7], v210 offset0:118 offset1:199
	s_waitcnt lgkmcnt(1)
	v_mul_f32_e32 v28, v141, v1
	v_mul_f32_e32 v32, v137, v3
	s_waitcnt lgkmcnt(0)
	v_mul_f32_e32 v30, v143, v5
	v_mul_f32_e32 v34, v139, v7
	v_fmac_f32_e32 v28, v140, v0
	v_mul_f32_e32 v0, v141, v0
	v_fmac_f32_e32 v32, v136, v2
	v_fmac_f32_e32 v30, v142, v4
	v_dual_fmac_f32 v34, v138, v6 :: v_dual_sub_f32 v141, v9, v11
	s_delay_alu instid0(VALU_DEP_4) | instskip(SKIP_1) | instid1(VALU_DEP_1)
	v_fma_f32 v29, v140, v1, -v0
	v_mul_f32_e32 v0, v143, v4
	v_fma_f32 v31, v142, v5, -v0
	v_mul_f32_e32 v0, v137, v2
	v_sub_f32_e32 v142, v8, v10
	s_delay_alu instid0(VALU_DEP_2) | instskip(SKIP_1) | instid1(VALU_DEP_1)
	v_fma_f32 v33, v136, v3, -v0
	v_mul_f32_e32 v0, v139, v6
	v_fma_f32 v35, v138, v7, -v0
	ds_load_2addr_b64 v[0:3], v206 offset0:110 offset1:191
	ds_load_2addr_b64 v[4:7], v202 offset0:152 offset1:233
	s_waitcnt lgkmcnt(1)
	v_mul_f32_e32 v36, v149, v1
	v_mul_f32_e32 v40, v145, v3
	s_waitcnt lgkmcnt(0)
	v_mul_f32_e32 v38, v151, v5
	v_mul_f32_e32 v42, v147, v7
	v_fmac_f32_e32 v36, v148, v0
	v_mul_f32_e32 v0, v149, v0
	v_fmac_f32_e32 v40, v144, v2
	v_fmac_f32_e32 v38, v150, v4
	;; [unrolled: 1-line block ×3, first 2 shown]
	s_delay_alu instid0(VALU_DEP_4) | instskip(SKIP_1) | instid1(VALU_DEP_1)
	v_fma_f32 v37, v148, v1, -v0
	v_mul_f32_e32 v0, v151, v4
	v_fma_f32 v39, v150, v5, -v0
	v_mul_f32_e32 v0, v145, v2
	s_delay_alu instid0(VALU_DEP_1) | instskip(SKIP_1) | instid1(VALU_DEP_1)
	v_fma_f32 v41, v144, v3, -v0
	v_mul_f32_e32 v0, v147, v6
	v_fma_f32 v43, v146, v7, -v0
	ds_load_2addr_b64 v[0:3], v215 offset0:16 offset1:97
	ds_load_2addr_b64 v[4:7], v188 offset0:58 offset1:139
	s_waitcnt lgkmcnt(1)
	v_mul_f32_e32 v49, v157, v1
	v_mul_f32_e32 v129, v153, v3
	s_waitcnt lgkmcnt(0)
	v_mul_f32_e32 v51, v159, v5
	v_mul_f32_e32 v131, v155, v7
	v_fmac_f32_e32 v49, v156, v0
	v_dual_mul_f32 v0, v157, v0 :: v_dual_fmac_f32 v129, v152, v2
	s_delay_alu instid0(VALU_DEP_4) | instskip(NEXT) | instid1(VALU_DEP_4)
	v_fmac_f32_e32 v51, v158, v4
	v_fmac_f32_e32 v131, v154, v6
	s_delay_alu instid0(VALU_DEP_3) | instskip(SKIP_1) | instid1(VALU_DEP_1)
	v_fma_f32 v50, v156, v1, -v0
	v_mul_f32_e32 v0, v159, v4
	v_fma_f32 v128, v158, v5, -v0
	v_mul_f32_e32 v0, v153, v2
	s_delay_alu instid0(VALU_DEP_1) | instskip(SKIP_1) | instid1(VALU_DEP_1)
	v_fma_f32 v130, v152, v3, -v0
	v_mul_f32_e32 v0, v155, v6
	v_fma_f32 v132, v154, v7, -v0
	ds_load_2addr_b64 v[0:3], v184 offset0:50 offset1:131
	ds_load_2addr_b64 v[4:7], v214 offset0:92 offset1:173
	s_waitcnt lgkmcnt(1)
	v_mul_f32_e32 v133, v165, v1
	v_mul_f32_e32 v137, v161, v3
	s_waitcnt lgkmcnt(0)
	v_mul_f32_e32 v135, v167, v5
	v_mul_f32_e32 v139, v163, v7
	v_fmac_f32_e32 v133, v164, v0
	v_dual_mul_f32 v0, v165, v0 :: v_dual_fmac_f32 v137, v160, v2
	s_delay_alu instid0(VALU_DEP_4) | instskip(NEXT) | instid1(VALU_DEP_4)
	v_fmac_f32_e32 v135, v166, v4
	v_fmac_f32_e32 v139, v162, v6
	s_delay_alu instid0(VALU_DEP_3) | instskip(SKIP_1) | instid1(VALU_DEP_1)
	v_fma_f32 v134, v164, v1, -v0
	v_mul_f32_e32 v0, v167, v4
	v_fma_f32 v136, v166, v5, -v0
	v_mul_f32_e32 v0, v161, v2
	s_delay_alu instid0(VALU_DEP_1) | instskip(SKIP_1) | instid1(VALU_DEP_1)
	v_fma_f32 v138, v160, v3, -v0
	v_mul_f32_e32 v0, v163, v6
	v_fma_f32 v140, v162, v7, -v0
	ds_load_2addr_b64 v[0:3], v48 offset1:81
	s_waitcnt lgkmcnt(0)
	v_dual_add_f32 v4, v0, v8 :: v_dual_add_f32 v5, v1, v9
	s_delay_alu instid0(VALU_DEP_1) | instskip(SKIP_1) | instid1(VALU_DEP_1)
	v_dual_add_f32 v20, v4, v10 :: v_dual_add_f32 v21, v5, v11
	v_dual_add_f32 v4, v9, v11 :: v_dual_add_f32 v5, v8, v10
	v_fma_f32 v1, -0.5, v4, v1
	s_delay_alu instid0(VALU_DEP_2)
	v_fma_f32 v0, -0.5, v5, v0
	ds_load_2addr_b64 v[4:7], v48 offset0:162 offset1:243
	ds_load_2addr_b64 v[8:11], v211 offset0:68 offset1:149
	ds_load_2addr_b64 v[12:15], v186 offset0:102 offset1:183
	ds_load_2addr_b64 v[16:19], v189 offset0:136 offset1:217
	s_waitcnt lgkmcnt(0)
	s_barrier
	buffer_gl0_inv
	scratch_load_b32 v146, off, off offset:504 ; 4-byte Folded Reload
	v_fmamk_f32 v22, v141, 0xbf5db3d7, v0
	v_dual_fmamk_f32 v23, v142, 0x3f5db3d7, v1 :: v_dual_fmac_f32 v0, 0x3f5db3d7, v141
	v_fmac_f32_e32 v1, 0xbf5db3d7, v142
	s_waitcnt vmcnt(0)
	ds_store_2addr_b64 v146, v[20:21], v[22:23] offset1:30
	ds_store_b64 v146, v[0:1] offset:480
	v_dual_add_f32 v0, v24, v26 :: v_dual_add_f32 v1, v2, v24
	v_sub_f32_e32 v23, v24, v26
	scratch_load_b32 v24, off, off offset:500 ; 4-byte Folded Reload
	v_add_f32_e32 v20, v3, v25
	v_fma_f32 v2, -0.5, v0, v2
	v_add_f32_e32 v0, v1, v26
	v_sub_f32_e32 v22, v25, v27
	s_delay_alu instid0(VALU_DEP_4) | instskip(SKIP_1) | instid1(VALU_DEP_1)
	v_add_f32_e32 v1, v20, v27
	v_add_f32_e32 v20, v25, v27
	v_dual_fmac_f32 v3, -0.5, v20 :: v_dual_fmamk_f32 v20, v22, 0xbf5db3d7, v2
	v_fmac_f32_e32 v2, 0x3f5db3d7, v22
	scratch_load_b32 v22, off, off offset:496 ; 4-byte Folded Reload
	v_fmamk_f32 v21, v23, 0x3f5db3d7, v3
	v_fmac_f32_e32 v3, 0xbf5db3d7, v23
	s_waitcnt vmcnt(1)
	ds_store_b64 v24, v[2:3] offset:480
	v_add_f32_e32 v2, v28, v30
	ds_store_2addr_b64 v24, v[0:1], v[20:21] offset1:30
	v_sub_f32_e32 v20, v29, v31
	v_dual_add_f32 v0, v4, v28 :: v_dual_add_f32 v3, v29, v31
	v_fma_f32 v2, -0.5, v2, v4
	v_add_f32_e32 v1, v5, v29
	v_sub_f32_e32 v21, v28, v30
	s_delay_alu instid0(VALU_DEP_4)
	v_add_f32_e32 v0, v0, v30
	v_fma_f32 v3, -0.5, v3, v5
	v_fmamk_f32 v4, v20, 0xbf5db3d7, v2
	v_fmac_f32_e32 v2, 0x3f5db3d7, v20
	scratch_load_b32 v20, off, off offset:492 ; 4-byte Folded Reload
	v_add_f32_e32 v1, v1, v31
	v_fmamk_f32 v5, v21, 0x3f5db3d7, v3
	v_fmac_f32_e32 v3, 0xbf5db3d7, v21
	s_waitcnt vmcnt(1)
	ds_store_2addr_b64 v22, v[0:1], v[4:5] offset1:30
	ds_store_b64 v22, v[2:3] offset:480
	v_dual_add_f32 v0, v32, v34 :: v_dual_add_f32 v1, v6, v32
	v_add_f32_e32 v2, v7, v33
	v_dual_sub_f32 v4, v33, v35 :: v_dual_sub_f32 v5, v32, v34
	s_delay_alu instid0(VALU_DEP_3) | instskip(NEXT) | instid1(VALU_DEP_3)
	v_fma_f32 v6, -0.5, v0, v6
	v_dual_add_f32 v0, v1, v34 :: v_dual_add_f32 v1, v2, v35
	v_add_f32_e32 v2, v33, v35
	s_delay_alu instid0(VALU_DEP_1) | instskip(NEXT) | instid1(VALU_DEP_1)
	v_dual_fmac_f32 v7, -0.5, v2 :: v_dual_fmamk_f32 v2, v4, 0xbf5db3d7, v6
	v_dual_fmac_f32 v6, 0x3f5db3d7, v4 :: v_dual_fmamk_f32 v3, v5, 0x3f5db3d7, v7
	v_fmac_f32_e32 v7, 0xbf5db3d7, v5
	s_waitcnt vmcnt(0)
	ds_store_2addr_b64 v20, v[0:1], v[2:3] offset1:30
	v_add_f32_e32 v2, v36, v38
	v_add_f32_e32 v0, v8, v36
	ds_store_b64 v20, v[6:7] offset:480
	v_sub_f32_e32 v6, v37, v39
	v_add_f32_e32 v3, v37, v39
	v_fma_f32 v2, -0.5, v2, v8
	scratch_load_b32 v8, off, off offset:488 ; 4-byte Folded Reload
	v_add_f32_e32 v1, v9, v37
	v_sub_f32_e32 v7, v36, v38
	v_fma_f32 v3, -0.5, v3, v9
	v_fmamk_f32 v4, v6, 0xbf5db3d7, v2
	v_fmac_f32_e32 v2, 0x3f5db3d7, v6
	scratch_load_b32 v6, off, off offset:484 ; 4-byte Folded Reload
	v_dual_add_f32 v0, v0, v38 :: v_dual_add_f32 v1, v1, v39
	v_fmamk_f32 v5, v7, 0x3f5db3d7, v3
	v_fmac_f32_e32 v3, 0xbf5db3d7, v7
	v_sub_f32_e32 v7, v49, v51
	s_waitcnt vmcnt(1)
	ds_store_2addr_b64 v8, v[0:1], v[4:5] offset1:30
	ds_store_b64 v8, v[2:3] offset:480
	v_dual_add_f32 v0, v40, v42 :: v_dual_add_f32 v1, v10, v40
	v_add_f32_e32 v2, v11, v41
	v_dual_sub_f32 v4, v41, v43 :: v_dual_sub_f32 v5, v40, v42
	s_delay_alu instid0(VALU_DEP_3) | instskip(NEXT) | instid1(VALU_DEP_3)
	v_fma_f32 v10, -0.5, v0, v10
	v_dual_add_f32 v0, v1, v42 :: v_dual_add_f32 v1, v2, v43
	v_add_f32_e32 v2, v41, v43
	scratch_load_b32 v8, off, off offset:432 ; 4-byte Folded Reload
	v_dual_fmac_f32 v11, -0.5, v2 :: v_dual_fmamk_f32 v2, v4, 0xbf5db3d7, v10
	s_delay_alu instid0(VALU_DEP_1)
	v_dual_fmac_f32 v10, 0x3f5db3d7, v4 :: v_dual_fmamk_f32 v3, v5, 0x3f5db3d7, v11
	v_fmac_f32_e32 v11, 0xbf5db3d7, v5
	s_waitcnt vmcnt(1)
	ds_store_2addr_b64 v6, v[0:1], v[2:3] offset1:30
	v_add_f32_e32 v2, v49, v51
	ds_store_b64 v6, v[10:11] offset:480
	v_sub_f32_e32 v6, v50, v128
	v_dual_add_f32 v0, v13, v50 :: v_dual_add_f32 v3, v50, v128
	v_fma_f32 v2, -0.5, v2, v12
	s_delay_alu instid0(VALU_DEP_2) | instskip(SKIP_1) | instid1(VALU_DEP_3)
	v_add_f32_e32 v1, v0, v128
	v_add_f32_e32 v0, v12, v49
	v_fmamk_f32 v4, v6, 0xbf5db3d7, v2
	v_fmac_f32_e32 v2, 0x3f5db3d7, v6
	scratch_load_b32 v6, off, off offset:428 ; 4-byte Folded Reload
	v_fma_f32 v3, -0.5, v3, v13
	s_delay_alu instid0(VALU_DEP_1)
	v_dual_add_f32 v0, v0, v51 :: v_dual_fmamk_f32 v5, v7, 0x3f5db3d7, v3
	v_fmac_f32_e32 v3, 0xbf5db3d7, v7
	v_sub_f32_e32 v7, v133, v135
	s_waitcnt vmcnt(1)
	ds_store_2addr_b64 v8, v[0:1], v[4:5] offset1:30
	v_add_f32_e32 v0, v129, v131
	ds_store_b64 v8, v[2:3] offset:480
	v_dual_add_f32 v2, v14, v129 :: v_dual_add_f32 v1, v15, v130
	v_sub_f32_e32 v4, v130, v132
	v_fma_f32 v14, -0.5, v0, v14
	v_dual_add_f32 v0, v130, v132 :: v_dual_sub_f32 v5, v129, v131
	scratch_load_b32 v8, off, off offset:424 ; 4-byte Folded Reload
	v_add_f32_e32 v1, v1, v132
	v_dual_fmac_f32 v15, -0.5, v0 :: v_dual_add_f32 v0, v2, v131
	v_fmamk_f32 v2, v4, 0xbf5db3d7, v14
	s_delay_alu instid0(VALU_DEP_2)
	v_dual_fmac_f32 v14, 0x3f5db3d7, v4 :: v_dual_fmamk_f32 v3, v5, 0x3f5db3d7, v15
	v_fmac_f32_e32 v15, 0xbf5db3d7, v5
	s_waitcnt vmcnt(1)
	ds_store_2addr_b64 v6, v[0:1], v[2:3] offset1:30
	v_add_f32_e32 v2, v133, v135
	ds_store_b64 v6, v[14:15] offset:480
	v_sub_f32_e32 v6, v134, v136
	v_dual_add_f32 v3, v134, v136 :: v_dual_add_f32 v0, v16, v133
	v_fma_f32 v2, -0.5, v2, v16
	v_add_f32_e32 v1, v17, v134
	s_delay_alu instid0(VALU_DEP_3) | instskip(NEXT) | instid1(VALU_DEP_4)
	v_fma_f32 v3, -0.5, v3, v17
	v_add_f32_e32 v0, v0, v135
	s_delay_alu instid0(VALU_DEP_4)
	v_fmamk_f32 v4, v6, 0xbf5db3d7, v2
	v_fmac_f32_e32 v2, 0x3f5db3d7, v6
	scratch_load_b32 v6, off, off offset:420 ; 4-byte Folded Reload
	v_add_f32_e32 v1, v1, v136
	v_fmamk_f32 v5, v7, 0x3f5db3d7, v3
	v_fmac_f32_e32 v3, 0xbf5db3d7, v7
	s_waitcnt vmcnt(1)
	ds_store_2addr_b64 v8, v[0:1], v[4:5] offset1:30
	ds_store_b64 v8, v[2:3] offset:480
	v_dual_add_f32 v0, v137, v139 :: v_dual_add_f32 v1, v18, v137
	v_add_f32_e32 v2, v19, v138
	v_dual_sub_f32 v4, v138, v140 :: v_dual_sub_f32 v5, v137, v139
	s_delay_alu instid0(VALU_DEP_3) | instskip(NEXT) | instid1(VALU_DEP_3)
	v_fma_f32 v18, -0.5, v0, v18
	v_dual_add_f32 v0, v1, v139 :: v_dual_add_f32 v1, v2, v140
	v_add_f32_e32 v2, v138, v140
	s_delay_alu instid0(VALU_DEP_1) | instskip(NEXT) | instid1(VALU_DEP_1)
	v_dual_fmac_f32 v19, -0.5, v2 :: v_dual_fmamk_f32 v2, v4, 0xbf5db3d7, v18
	v_dual_fmac_f32 v18, 0x3f5db3d7, v4 :: v_dual_fmamk_f32 v3, v5, 0x3f5db3d7, v19
	v_fmac_f32_e32 v19, 0xbf5db3d7, v5
	s_waitcnt vmcnt(0)
	ds_store_2addr_b64 v6, v[0:1], v[2:3] offset1:30
	ds_store_b64 v6, v[18:19] offset:480
	s_waitcnt lgkmcnt(0)
	s_barrier
	buffer_gl0_inv
	ds_load_2addr_b64 v[0:3], v224 offset0:42 offset1:123
	ds_load_2addr_b64 v[4:7], v201 offset0:84 offset1:165
	s_waitcnt lgkmcnt(1)
	v_mul_f32_e32 v8, v89, v1
	v_mul_f32_e32 v24, v73, v3
	s_waitcnt lgkmcnt(0)
	v_mul_f32_e32 v10, v91, v5
	v_mul_f32_e32 v26, v75, v7
	v_fmac_f32_e32 v8, v88, v0
	v_mul_f32_e32 v0, v89, v0
	v_fmac_f32_e32 v24, v72, v2
	v_fmac_f32_e32 v10, v90, v4
	v_fmac_f32_e32 v26, v74, v6
	s_delay_alu instid0(VALU_DEP_4) | instskip(SKIP_1) | instid1(VALU_DEP_1)
	v_fma_f32 v9, v88, v1, -v0
	v_mul_f32_e32 v0, v91, v4
	v_fma_f32 v11, v90, v5, -v0
	v_mul_f32_e32 v0, v73, v2
	s_delay_alu instid0(VALU_DEP_1) | instskip(SKIP_1) | instid1(VALU_DEP_1)
	v_fma_f32 v25, v72, v3, -v0
	v_mul_f32_e32 v0, v75, v6
	v_fma_f32 v27, v74, v7, -v0
	ds_load_2addr_b64 v[0:3], v203 offset0:76 offset1:157
	ds_load_2addr_b64 v[4:7], v210 offset0:118 offset1:199
	s_waitcnt lgkmcnt(1)
	v_mul_f32_e32 v28, v85, v1
	v_mul_f32_e32 v32, v65, v3
	s_waitcnt lgkmcnt(0)
	v_mul_f32_e32 v30, v87, v5
	v_mul_f32_e32 v34, v67, v7
	v_fmac_f32_e32 v28, v84, v0
	v_mul_f32_e32 v0, v85, v0
	v_fmac_f32_e32 v32, v64, v2
	v_fmac_f32_e32 v30, v86, v4
	v_fmac_f32_e32 v34, v66, v6
	s_delay_alu instid0(VALU_DEP_4) | instskip(SKIP_1) | instid1(VALU_DEP_1)
	v_fma_f32 v29, v84, v1, -v0
	v_mul_f32_e32 v0, v87, v4
	v_fma_f32 v31, v86, v5, -v0
	v_mul_f32_e32 v0, v65, v2
	s_delay_alu instid0(VALU_DEP_1) | instskip(SKIP_1) | instid1(VALU_DEP_1)
	v_fma_f32 v33, v64, v3, -v0
	v_mul_f32_e32 v0, v67, v6
	v_fma_f32 v35, v66, v7, -v0
	;; [unrolled: 22-line block ×3, first 2 shown]
	ds_load_2addr_b64 v[0:3], v215 offset0:16 offset1:97
	ds_load_2addr_b64 v[4:7], v188 offset0:58 offset1:139
	s_waitcnt lgkmcnt(1)
	v_mul_f32_e32 v49, v77, v1
	v_mul_f32_e32 v61, v53, v3
	s_waitcnt lgkmcnt(0)
	v_mul_f32_e32 v51, v79, v5
	s_delay_alu instid0(VALU_DEP_3) | instskip(NEXT) | instid1(VALU_DEP_3)
	v_fmac_f32_e32 v49, v76, v0
	v_dual_mul_f32 v0, v77, v0 :: v_dual_fmac_f32 v61, v52, v2
	s_delay_alu instid0(VALU_DEP_3) | instskip(NEXT) | instid1(VALU_DEP_2)
	v_fmac_f32_e32 v51, v78, v4
	v_fma_f32 v50, v76, v1, -v0
	v_mul_f32_e32 v0, v79, v4
	s_delay_alu instid0(VALU_DEP_1) | instskip(SKIP_1) | instid1(VALU_DEP_1)
	v_fma_f32 v60, v78, v5, -v0
	v_dual_mul_f32 v0, v53, v2 :: v_dual_mul_f32 v53, v55, v7
	v_fma_f32 v52, v52, v3, -v0
	v_mul_f32_e32 v0, v55, v6
	s_delay_alu instid0(VALU_DEP_3) | instskip(NEXT) | instid1(VALU_DEP_2)
	v_fmac_f32_e32 v53, v54, v6
	v_fma_f32 v54, v54, v7, -v0
	ds_load_2addr_b64 v[0:3], v184 offset0:50 offset1:131
	ds_load_2addr_b64 v[4:7], v214 offset0:92 offset1:173
	s_waitcnt lgkmcnt(1)
	v_mul_f32_e32 v55, v69, v1
	v_mul_f32_e32 v65, v237, v3
	s_waitcnt lgkmcnt(0)
	v_mul_f32_e32 v63, v71, v5
	v_mul_f32_e32 v67, v239, v7
	v_fmac_f32_e32 v55, v68, v0
	v_dual_mul_f32 v0, v69, v0 :: v_dual_fmac_f32 v65, v236, v2
	s_delay_alu instid0(VALU_DEP_4) | instskip(SKIP_2) | instid1(VALU_DEP_4)
	v_fmac_f32_e32 v63, v70, v4
	v_sub_f32_e32 v69, v9, v11
	v_fmac_f32_e32 v67, v238, v6
	v_fma_f32 v62, v68, v1, -v0
	v_mul_f32_e32 v0, v71, v4
	s_delay_alu instid0(VALU_DEP_1) | instskip(SKIP_2) | instid1(VALU_DEP_2)
	v_fma_f32 v64, v70, v5, -v0
	v_mul_f32_e32 v0, v237, v2
	v_dual_add_f32 v5, v9, v11 :: v_dual_sub_f32 v70, v8, v10
	v_fma_f32 v66, v236, v3, -v0
	v_mul_f32_e32 v0, v239, v6
	s_delay_alu instid0(VALU_DEP_1) | instskip(SKIP_4) | instid1(VALU_DEP_2)
	v_fma_f32 v68, v238, v7, -v0
	ds_load_2addr_b64 v[0:3], v48 offset1:81
	s_waitcnt lgkmcnt(0)
	v_add_f32_e32 v4, v1, v9
	v_fma_f32 v1, -0.5, v5, v1
	v_add_f32_e32 v21, v4, v11
	s_delay_alu instid0(VALU_DEP_2) | instskip(SKIP_1) | instid1(VALU_DEP_2)
	v_dual_add_f32 v4, v0, v8 :: v_dual_fmamk_f32 v23, v70, 0x3f5db3d7, v1
	v_fmac_f32_e32 v1, 0xbf5db3d7, v70
	v_add_f32_e32 v20, v4, v10
	v_add_f32_e32 v4, v8, v10
	s_delay_alu instid0(VALU_DEP_1)
	v_fma_f32 v0, -0.5, v4, v0
	ds_load_2addr_b64 v[4:7], v48 offset0:162 offset1:243
	ds_load_2addr_b64 v[8:11], v211 offset0:68 offset1:149
	;; [unrolled: 1-line block ×4, first 2 shown]
	s_waitcnt lgkmcnt(0)
	s_barrier
	buffer_gl0_inv
	v_fmamk_f32 v22, v69, 0xbf5db3d7, v0
	v_fmac_f32_e32 v0, 0x3f5db3d7, v69
	ds_store_2addr_b64 v48, v[20:21], v[22:23] offset1:90
	ds_store_b64 v48, v[0:1] offset:1440
	v_add_f32_e32 v0, v24, v26
	v_dual_add_f32 v20, v2, v24 :: v_dual_sub_f32 v23, v24, v26
	scratch_load_b32 v24, off, off offset:336 ; 4-byte Folded Reload
	v_add_f32_e32 v21, v25, v27
	v_fma_f32 v2, -0.5, v0, v2
	v_add_f32_e32 v0, v3, v25
	s_delay_alu instid0(VALU_DEP_3) | instskip(NEXT) | instid1(VALU_DEP_2)
	v_dual_sub_f32 v22, v25, v27 :: v_dual_fmac_f32 v3, -0.5, v21
	v_add_f32_e32 v1, v0, v27
	v_add_f32_e32 v0, v20, v26
	s_delay_alu instid0(VALU_DEP_3) | instskip(NEXT) | instid1(VALU_DEP_4)
	v_fmamk_f32 v20, v22, 0xbf5db3d7, v2
	v_dual_fmamk_f32 v21, v23, 0x3f5db3d7, v3 :: v_dual_fmac_f32 v2, 0x3f5db3d7, v22
	v_fmac_f32_e32 v3, 0xbf5db3d7, v23
	scratch_load_b32 v22, off, off offset:332 ; 4-byte Folded Reload
	s_waitcnt vmcnt(1)
	ds_store_b64 v24, v[2:3] offset:1440
	v_add_f32_e32 v2, v28, v30
	ds_store_2addr_b64 v24, v[0:1], v[20:21] offset1:90
	v_add_f32_e32 v0, v5, v29
	v_sub_f32_e32 v20, v29, v31
	v_add_f32_e32 v3, v29, v31
	v_fma_f32 v2, -0.5, v2, v4
	v_sub_f32_e32 v21, v28, v30
	v_add_f32_e32 v1, v0, v31
	v_add_f32_e32 v0, v4, v28
	v_fma_f32 v3, -0.5, v3, v5
	v_fmamk_f32 v4, v20, 0xbf5db3d7, v2
	v_fmac_f32_e32 v2, 0x3f5db3d7, v20
	scratch_load_b32 v20, off, off offset:328 ; 4-byte Folded Reload
	v_dual_add_f32 v0, v0, v30 :: v_dual_fmamk_f32 v5, v21, 0x3f5db3d7, v3
	v_fmac_f32_e32 v3, 0xbf5db3d7, v21
	s_waitcnt vmcnt(1)
	ds_store_2addr_b64 v22, v[0:1], v[4:5] offset1:90
	ds_store_b64 v22, v[2:3] offset:1440
	v_dual_add_f32 v0, v32, v34 :: v_dual_add_f32 v3, v33, v35
	v_add_f32_e32 v2, v6, v32
	v_dual_sub_f32 v4, v33, v35 :: v_dual_sub_f32 v5, v32, v34
	s_delay_alu instid0(VALU_DEP_3) | instskip(NEXT) | instid1(VALU_DEP_4)
	v_fma_f32 v6, -0.5, v0, v6
	v_dual_add_f32 v0, v7, v33 :: v_dual_fmac_f32 v7, -0.5, v3
	s_delay_alu instid0(VALU_DEP_1) | instskip(NEXT) | instid1(VALU_DEP_3)
	v_dual_add_f32 v1, v0, v35 :: v_dual_add_f32 v0, v2, v34
	v_fmamk_f32 v2, v4, 0xbf5db3d7, v6
	s_delay_alu instid0(VALU_DEP_3)
	v_dual_fmamk_f32 v3, v5, 0x3f5db3d7, v7 :: v_dual_fmac_f32 v6, 0x3f5db3d7, v4
	v_fmac_f32_e32 v7, 0xbf5db3d7, v5
	s_waitcnt vmcnt(0)
	ds_store_2addr_b64 v20, v[0:1], v[2:3] offset1:90
	v_add_f32_e32 v0, v9, v37
	v_add_f32_e32 v2, v36, v38
	ds_store_b64 v20, v[6:7] offset:1440
	v_sub_f32_e32 v6, v37, v39
	v_add_f32_e32 v3, v37, v39
	v_add_f32_e32 v1, v0, v39
	;; [unrolled: 1-line block ×3, first 2 shown]
	v_fma_f32 v2, -0.5, v2, v8
	scratch_load_b32 v8, off, off offset:320 ; 4-byte Folded Reload
	v_fma_f32 v3, -0.5, v3, v9
	v_sub_f32_e32 v7, v36, v38
	v_add_f32_e32 v0, v0, v38
	v_fmamk_f32 v4, v6, 0xbf5db3d7, v2
	v_fmac_f32_e32 v2, 0x3f5db3d7, v6
	scratch_load_b32 v6, off, off offset:316 ; 4-byte Folded Reload
	v_fmamk_f32 v5, v7, 0x3f5db3d7, v3
	v_fmac_f32_e32 v3, 0xbf5db3d7, v7
	v_sub_f32_e32 v7, v49, v51
	s_waitcnt vmcnt(1)
	ds_store_2addr_b64 v8, v[0:1], v[4:5] offset1:90
	ds_store_b64 v8, v[2:3] offset:1440
	scratch_load_b32 v8, off, off offset:312 ; 4-byte Folded Reload
	v_dual_add_f32 v0, v40, v42 :: v_dual_add_f32 v3, v41, v43
	v_add_f32_e32 v2, v10, v40
	v_dual_sub_f32 v4, v41, v43 :: v_dual_sub_f32 v5, v40, v42
	s_delay_alu instid0(VALU_DEP_3) | instskip(NEXT) | instid1(VALU_DEP_4)
	v_fma_f32 v10, -0.5, v0, v10
	v_dual_add_f32 v0, v11, v41 :: v_dual_fmac_f32 v11, -0.5, v3
	s_delay_alu instid0(VALU_DEP_1) | instskip(NEXT) | instid1(VALU_DEP_3)
	v_dual_add_f32 v1, v0, v43 :: v_dual_add_f32 v0, v2, v42
	v_fmamk_f32 v2, v4, 0xbf5db3d7, v10
	s_delay_alu instid0(VALU_DEP_3)
	v_dual_fmamk_f32 v3, v5, 0x3f5db3d7, v11 :: v_dual_fmac_f32 v10, 0x3f5db3d7, v4
	v_fmac_f32_e32 v11, 0xbf5db3d7, v5
	s_waitcnt vmcnt(1)
	ds_store_2addr_b64 v6, v[0:1], v[2:3] offset1:90
	v_add_f32_e32 v2, v49, v51
	ds_store_b64 v6, v[10:11] offset:1440
	v_sub_f32_e32 v6, v50, v60
	v_dual_add_f32 v0, v13, v50 :: v_dual_add_f32 v3, v50, v60
	v_fma_f32 v2, -0.5, v2, v12
	s_delay_alu instid0(VALU_DEP_2) | instskip(SKIP_1) | instid1(VALU_DEP_3)
	v_add_f32_e32 v1, v0, v60
	v_add_f32_e32 v0, v12, v49
	v_fmamk_f32 v4, v6, 0xbf5db3d7, v2
	v_fmac_f32_e32 v2, 0x3f5db3d7, v6
	scratch_load_b32 v6, off, off offset:308 ; 4-byte Folded Reload
	v_fma_f32 v3, -0.5, v3, v13
	s_delay_alu instid0(VALU_DEP_1)
	v_dual_add_f32 v0, v0, v51 :: v_dual_fmamk_f32 v5, v7, 0x3f5db3d7, v3
	v_fmac_f32_e32 v3, 0xbf5db3d7, v7
	v_sub_f32_e32 v7, v55, v63
	s_waitcnt vmcnt(1)
	ds_store_2addr_b64 v8, v[0:1], v[4:5] offset1:90
	ds_store_b64 v8, v[2:3] offset:1440
	v_dual_add_f32 v0, v61, v53 :: v_dual_add_f32 v3, v52, v54
	v_add_f32_e32 v2, v14, v61
	v_dual_sub_f32 v4, v52, v54 :: v_dual_sub_f32 v5, v61, v53
	s_delay_alu instid0(VALU_DEP_3) | instskip(NEXT) | instid1(VALU_DEP_4)
	v_fma_f32 v14, -0.5, v0, v14
	v_dual_add_f32 v0, v15, v52 :: v_dual_fmac_f32 v15, -0.5, v3
	scratch_load_b32 v8, off, off offset:304 ; 4-byte Folded Reload
	v_dual_add_f32 v1, v0, v54 :: v_dual_add_f32 v0, v2, v53
	v_fmamk_f32 v2, v4, 0xbf5db3d7, v14
	v_dual_fmamk_f32 v3, v5, 0x3f5db3d7, v15 :: v_dual_fmac_f32 v14, 0x3f5db3d7, v4
	v_fmac_f32_e32 v15, 0xbf5db3d7, v5
	s_waitcnt vmcnt(1)
	ds_store_2addr_b64 v6, v[0:1], v[2:3] offset1:90
	v_add_f32_e32 v2, v55, v63
	ds_store_b64 v6, v[14:15] offset:1440
	v_sub_f32_e32 v6, v62, v64
	v_dual_add_f32 v0, v17, v62 :: v_dual_add_f32 v3, v62, v64
	v_fma_f32 v2, -0.5, v2, v16
	s_delay_alu instid0(VALU_DEP_2) | instskip(SKIP_1) | instid1(VALU_DEP_3)
	v_add_f32_e32 v1, v0, v64
	v_add_f32_e32 v0, v16, v55
	v_fmamk_f32 v4, v6, 0xbf5db3d7, v2
	v_fmac_f32_e32 v2, 0x3f5db3d7, v6
	scratch_load_b32 v6, off, off offset:300 ; 4-byte Folded Reload
	v_fma_f32 v3, -0.5, v3, v17
	s_delay_alu instid0(VALU_DEP_1)
	v_dual_add_f32 v0, v0, v63 :: v_dual_fmamk_f32 v5, v7, 0x3f5db3d7, v3
	v_fmac_f32_e32 v3, 0xbf5db3d7, v7
	s_waitcnt vmcnt(1)
	ds_store_2addr_b64 v8, v[0:1], v[4:5] offset1:90
	v_add_f32_e32 v0, v65, v67
	ds_store_b64 v8, v[2:3] offset:1440
	v_dual_add_f32 v2, v18, v65 :: v_dual_add_f32 v1, v19, v66
	v_sub_f32_e32 v4, v66, v68
	v_fma_f32 v18, -0.5, v0, v18
	v_dual_add_f32 v0, v66, v68 :: v_dual_sub_f32 v5, v65, v67
	s_delay_alu instid0(VALU_DEP_4) | instskip(NEXT) | instid1(VALU_DEP_2)
	v_add_f32_e32 v1, v1, v68
	v_dual_fmac_f32 v19, -0.5, v0 :: v_dual_add_f32 v0, v2, v67
	s_delay_alu instid0(VALU_DEP_4) | instskip(NEXT) | instid1(VALU_DEP_2)
	v_fmamk_f32 v2, v4, 0xbf5db3d7, v18
	v_dual_fmac_f32 v18, 0x3f5db3d7, v4 :: v_dual_fmamk_f32 v3, v5, 0x3f5db3d7, v19
	v_fmac_f32_e32 v19, 0xbf5db3d7, v5
	s_waitcnt vmcnt(0)
	ds_store_2addr_b64 v6, v[0:1], v[2:3] offset0:112 offset1:202
	scratch_load_b32 v0, off, off offset:296 ; 4-byte Folded Reload
	s_waitcnt vmcnt(0)
	ds_store_b64 v0, v[18:19] offset:18720
	s_waitcnt lgkmcnt(0)
	s_barrier
	buffer_gl0_inv
	scratch_load_b128 v[6:9], off, off offset:404 ; 16-byte Folded Reload
	ds_load_2addr_b64 v[0:3], v224 offset0:42 offset1:123
	scratch_load_b128 v[25:28], off, off offset:468 ; 16-byte Folded Reload
	s_waitcnt vmcnt(1) lgkmcnt(0)
	v_mul_f32_e32 v14, v7, v1
	s_delay_alu instid0(VALU_DEP_1) | instskip(SKIP_1) | instid1(VALU_DEP_1)
	v_fmac_f32_e32 v14, v6, v0
	v_mul_f32_e32 v0, v7, v0
	v_fma_f32 v18, v6, v1, -v0
	ds_load_2addr_b64 v[4:7], v201 offset0:84 offset1:165
	s_waitcnt lgkmcnt(0)
	v_mul_f32_e32 v19, v9, v5
	v_mul_f32_e32 v0, v9, v4
	s_delay_alu instid0(VALU_DEP_2) | instskip(NEXT) | instid1(VALU_DEP_2)
	v_fmac_f32_e32 v19, v8, v4
	v_fma_f32 v20, v8, v5, -v0
	scratch_load_b128 v[8:11], off, off offset:388 ; 16-byte Folded Reload
	s_waitcnt vmcnt(0)
	v_mul_f32_e32 v0, v9, v2
	v_mul_f32_e32 v39, v9, v3
	;; [unrolled: 1-line block ×3, first 2 shown]
	s_delay_alu instid0(VALU_DEP_3) | instskip(SKIP_1) | instid1(VALU_DEP_4)
	v_fma_f32 v40, v8, v3, -v0
	v_mul_f32_e32 v0, v11, v6
	v_fmac_f32_e32 v39, v8, v2
	s_delay_alu instid0(VALU_DEP_4) | instskip(NEXT) | instid1(VALU_DEP_3)
	v_fmac_f32_e32 v41, v10, v6
	v_fma_f32 v42, v10, v7, -v0
	scratch_load_b128 v[6:9], off, off offset:436 ; 16-byte Folded Reload
	ds_load_2addr_b64 v[0:3], v203 offset0:76 offset1:157
	s_waitcnt lgkmcnt(0)
	v_mul_f32_e32 v52, v93, v3
	s_waitcnt vmcnt(0)
	s_delay_alu instid0(VALU_DEP_1) | instskip(NEXT) | instid1(VALU_DEP_1)
	v_dual_fmac_f32 v52, v92, v2 :: v_dual_mul_f32 v43, v7, v1
	v_fmac_f32_e32 v43, v6, v0
	v_mul_f32_e32 v0, v7, v0
	s_delay_alu instid0(VALU_DEP_1)
	v_fma_f32 v49, v6, v1, -v0
	ds_load_2addr_b64 v[4:7], v210 offset0:118 offset1:199
	s_waitcnt lgkmcnt(0)
	v_mul_f32_e32 v0, v9, v4
	v_mul_f32_e32 v50, v9, v5
	;; [unrolled: 1-line block ×3, first 2 shown]
	s_delay_alu instid0(VALU_DEP_3) | instskip(SKIP_1) | instid1(VALU_DEP_4)
	v_fma_f32 v51, v8, v5, -v0
	v_mul_f32_e32 v0, v93, v2
	v_fmac_f32_e32 v50, v8, v4
	s_delay_alu instid0(VALU_DEP_4) | instskip(NEXT) | instid1(VALU_DEP_3)
	v_fmac_f32_e32 v54, v94, v6
	v_fma_f32 v53, v92, v3, -v0
	v_mul_f32_e32 v0, v95, v6
	s_delay_alu instid0(VALU_DEP_1)
	v_fma_f32 v55, v94, v7, -v0
	scratch_load_b128 v[6:9], off, off offset:452 ; 16-byte Folded Reload
	ds_load_2addr_b64 v[0:3], v206 offset0:110 offset1:191
	s_waitcnt lgkmcnt(0)
	v_mul_f32_e32 v61, v57, v3
	s_waitcnt vmcnt(0)
	s_delay_alu instid0(VALU_DEP_1) | instskip(NEXT) | instid1(VALU_DEP_1)
	v_dual_fmac_f32 v61, v56, v2 :: v_dual_mul_f32 v24, v7, v1
	v_fmac_f32_e32 v24, v6, v0
	v_mul_f32_e32 v0, v7, v0
	s_delay_alu instid0(VALU_DEP_1) | instskip(SKIP_4) | instid1(VALU_DEP_2)
	v_fma_f32 v16, v6, v1, -v0
	ds_load_2addr_b64 v[4:7], v202 offset0:152 offset1:233
	s_waitcnt lgkmcnt(0)
	v_mul_f32_e32 v0, v9, v4
	v_mul_f32_e32 v17, v9, v5
	v_fma_f32 v60, v8, v5, -v0
	v_dual_mul_f32 v0, v57, v2 :: v_dual_mul_f32 v57, v59, v7
	s_delay_alu instid0(VALU_DEP_3) | instskip(SKIP_4) | instid1(VALU_DEP_2)
	v_fmac_f32_e32 v17, v8, v4
	ds_load_2addr_b64 v[8:11], v214 offset0:92 offset1:173
	v_fma_f32 v56, v56, v3, -v0
	v_mul_f32_e32 v0, v59, v6
	v_fmac_f32_e32 v57, v58, v6
	v_fma_f32 v58, v58, v7, -v0
	ds_load_2addr_b64 v[0:3], v215 offset0:16 offset1:97
	ds_load_2addr_b64 v[4:7], v188 offset0:58 offset1:139
	s_waitcnt lgkmcnt(1)
	v_mul_f32_e32 v59, v45, v1
	s_delay_alu instid0(VALU_DEP_1) | instskip(SKIP_2) | instid1(VALU_DEP_1)
	v_fmac_f32_e32 v59, v44, v0
	s_waitcnt lgkmcnt(0)
	v_dual_mul_f32 v0, v45, v0 :: v_dual_mul_f32 v45, v47, v5
	v_fma_f32 v44, v44, v1, -v0
	v_dual_mul_f32 v0, v47, v4 :: v_dual_mul_f32 v1, v241, v2
	s_delay_alu instid0(VALU_DEP_3) | instskip(NEXT) | instid1(VALU_DEP_2)
	v_fmac_f32_e32 v45, v46, v4
	v_fma_f32 v46, v46, v5, -v0
	v_mul_f32_e32 v0, v241, v3
	s_delay_alu instid0(VALU_DEP_4) | instskip(SKIP_2) | instid1(VALU_DEP_4)
	v_fma_f32 v47, v240, v3, -v1
	v_mul_f32_e32 v3, v243, v7
	v_mul_f32_e32 v1, v243, v6
	v_fmac_f32_e32 v0, v240, v2
	s_delay_alu instid0(VALU_DEP_3) | instskip(NEXT) | instid1(VALU_DEP_3)
	v_fmac_f32_e32 v3, v242, v6
	v_fma_f32 v12, v242, v7, -v1
	ds_load_2addr_b64 v[4:7], v184 offset0:50 offset1:131
	s_waitcnt lgkmcnt(0)
	v_mul_f32_e32 v2, v245, v4
	v_mul_f32_e32 v1, v245, v5
	s_delay_alu instid0(VALU_DEP_2) | instskip(SKIP_1) | instid1(VALU_DEP_3)
	v_fma_f32 v5, v244, v5, -v2
	v_mul_f32_e32 v2, v247, v8
	v_dual_fmac_f32 v1, v244, v4 :: v_dual_mul_f32 v4, v247, v9
	s_delay_alu instid0(VALU_DEP_2) | instskip(SKIP_1) | instid1(VALU_DEP_3)
	v_fma_f32 v13, v246, v9, -v2
	v_mul_f32_e32 v2, v26, v7
	v_fmac_f32_e32 v4, v246, v8
	v_mul_f32_e32 v8, v28, v10
	s_delay_alu instid0(VALU_DEP_3) | instskip(SKIP_1) | instid1(VALU_DEP_3)
	v_fmac_f32_e32 v2, v25, v6
	v_mul_f32_e32 v6, v26, v6
	v_fma_f32 v15, v27, v11, -v8
	s_delay_alu instid0(VALU_DEP_2) | instskip(SKIP_1) | instid1(VALU_DEP_1)
	v_fma_f32 v7, v25, v7, -v6
	v_dual_mul_f32 v6, v28, v11 :: v_dual_add_f32 v25, v18, v20
	v_fmac_f32_e32 v6, v27, v10
	ds_load_2addr_b64 v[8:11], v48 offset1:81
	s_waitcnt lgkmcnt(0)
	v_dual_add_f32 v21, v9, v18 :: v_dual_sub_f32 v18, v18, v20
	v_fma_f32 v9, -0.5, v25, v9
	s_delay_alu instid0(VALU_DEP_2) | instskip(NEXT) | instid1(VALU_DEP_1)
	v_dual_add_f32 v23, v21, v20 :: v_dual_add_f32 v20, v8, v14
	v_add_f32_e32 v22, v20, v19
	v_add_f32_e32 v20, v14, v19
	v_sub_f32_e32 v14, v14, v19
	s_delay_alu instid0(VALU_DEP_2) | instskip(NEXT) | instid1(VALU_DEP_2)
	v_fma_f32 v8, -0.5, v20, v8
	v_fmamk_f32 v38, v14, 0x3f5db3d7, v9
	v_dual_fmac_f32 v9, 0xbf5db3d7, v14 :: v_dual_sub_f32 v14, v39, v41
	s_delay_alu instid0(VALU_DEP_3)
	v_fmamk_f32 v37, v18, 0xbf5db3d7, v8
	v_fmac_f32_e32 v8, 0x3f5db3d7, v18
	ds_load_2addr_b64 v[18:21], v48 offset0:162 offset1:243
	ds_load_2addr_b64 v[25:28], v211 offset0:68 offset1:149
	;; [unrolled: 1-line block ×4, first 2 shown]
	s_waitcnt lgkmcnt(0)
	s_barrier
	buffer_gl0_inv
	ds_store_b64 v48, v[37:38] offset:2160
	ds_store_b64 v48, v[8:9] offset:4320
	v_dual_add_f32 v8, v10, v39 :: v_dual_add_f32 v9, v11, v40
	s_delay_alu instid0(VALU_DEP_1) | instskip(NEXT) | instid1(VALU_DEP_2)
	v_dual_sub_f32 v37, v43, v50 :: v_dual_add_f32 v8, v8, v41
	v_add_f32_e32 v9, v9, v42
	ds_store_2addr_b64 v48, v[22:23], v[8:9] offset1:81
	v_dual_add_f32 v8, v18, v43 :: v_dual_add_f32 v9, v19, v49
	v_dual_add_f32 v22, v43, v50 :: v_dual_sub_f32 v23, v49, v51
	s_delay_alu instid0(VALU_DEP_2) | instskip(NEXT) | instid1(VALU_DEP_2)
	v_dual_add_f32 v8, v8, v50 :: v_dual_add_f32 v9, v9, v51
	v_fma_f32 v18, -0.5, v22, v18
	ds_store_b64 v48, v[8:9] offset:1296
	v_dual_add_f32 v8, v39, v41 :: v_dual_sub_f32 v9, v40, v42
	v_fmamk_f32 v22, v23, 0xbf5db3d7, v18
	v_fmac_f32_e32 v18, 0x3f5db3d7, v23
	s_delay_alu instid0(VALU_DEP_3) | instskip(SKIP_1) | instid1(VALU_DEP_1)
	v_fma_f32 v10, -0.5, v8, v10
	v_add_f32_e32 v8, v40, v42
	v_dual_fmac_f32 v11, -0.5, v8 :: v_dual_fmamk_f32 v8, v9, 0xbf5db3d7, v10
	v_dual_fmac_f32 v10, 0x3f5db3d7, v9 :: v_dual_add_f32 v9, v49, v51
	s_delay_alu instid0(VALU_DEP_1) | instskip(NEXT) | instid1(VALU_DEP_3)
	v_fma_f32 v19, -0.5, v9, v19
	v_fmamk_f32 v9, v14, 0x3f5db3d7, v11
	v_dual_fmac_f32 v11, 0xbf5db3d7, v14 :: v_dual_sub_f32 v14, v53, v55
	s_delay_alu instid0(VALU_DEP_3)
	v_fmamk_f32 v23, v37, 0x3f5db3d7, v19
	v_fmac_f32_e32 v19, 0xbf5db3d7, v37
	ds_store_2addr_b64 v189, v[10:11], v[18:19] offset0:109 offset1:190
	ds_store_2addr_b64 v211, v[8:9], v[22:23] offset0:95 offset1:176
	scratch_load_b32 v19, off, off offset:292 ; 4-byte Folded Reload
	v_add_f32_e32 v8, v52, v54
	v_dual_add_f32 v10, v20, v52 :: v_dual_add_f32 v9, v21, v53
	v_sub_f32_e32 v18, v52, v54
	s_delay_alu instid0(VALU_DEP_3) | instskip(SKIP_1) | instid1(VALU_DEP_4)
	v_fma_f32 v20, -0.5, v8, v20
	v_add_f32_e32 v8, v53, v55
	v_add_f32_e32 v9, v9, v55
	s_delay_alu instid0(VALU_DEP_2) | instskip(NEXT) | instid1(VALU_DEP_4)
	v_dual_fmac_f32 v21, -0.5, v8 :: v_dual_add_f32 v8, v10, v54
	v_fmamk_f32 v10, v14, 0xbf5db3d7, v20
	v_fmac_f32_e32 v20, 0x3f5db3d7, v14
	s_delay_alu instid0(VALU_DEP_3)
	v_dual_sub_f32 v14, v24, v17 :: v_dual_fmamk_f32 v11, v18, 0x3f5db3d7, v21
	v_fmac_f32_e32 v21, 0xbf5db3d7, v18
	s_waitcnt vmcnt(0)
	ds_store_b64 v19, v[8:9]
	v_add_f32_e32 v8, v24, v17
	v_add_f32_e32 v9, v16, v60
	ds_store_b64 v19, v[20:21] offset:4320
	ds_store_b64 v19, v[10:11] offset:2160
	v_dual_sub_f32 v11, v16, v60 :: v_dual_add_f32 v20, v27, v61
	v_fma_f32 v8, -0.5, v8, v25
	v_fma_f32 v9, -0.5, v9, v26
	s_delay_alu instid0(VALU_DEP_2) | instskip(NEXT) | instid1(VALU_DEP_2)
	v_dual_add_f32 v21, v28, v56 :: v_dual_fmamk_f32 v10, v11, 0xbf5db3d7, v8
	v_dual_fmac_f32 v8, 0x3f5db3d7, v11 :: v_dual_fmamk_f32 v11, v14, 0x3f5db3d7, v9
	v_dual_fmac_f32 v9, 0xbf5db3d7, v14 :: v_dual_add_f32 v14, v61, v57
	s_delay_alu instid0(VALU_DEP_1) | instskip(SKIP_1) | instid1(VALU_DEP_1)
	v_fma_f32 v27, -0.5, v14, v27
	v_add_f32_e32 v14, v56, v58
	v_fmac_f32_e32 v28, -0.5, v14
	v_sub_f32_e32 v14, v56, v58
	s_delay_alu instid0(VALU_DEP_1) | instskip(SKIP_1) | instid1(VALU_DEP_1)
	v_fmamk_f32 v18, v14, 0xbf5db3d7, v27
	v_dual_fmac_f32 v27, 0x3f5db3d7, v14 :: v_dual_sub_f32 v14, v61, v57
	v_fmamk_f32 v19, v14, 0x3f5db3d7, v28
	v_fmac_f32_e32 v28, 0xbf5db3d7, v14
	v_sub_f32_e32 v14, v44, v46
	ds_store_2addr_b64 v215, v[8:9], v[27:28] offset0:124 offset1:205
	v_add_f32_e32 v8, v25, v24
	v_dual_add_f32 v9, v26, v16 :: v_dual_add_f32 v16, v20, v57
	s_delay_alu instid0(VALU_DEP_1)
	v_dual_add_f32 v8, v8, v17 :: v_dual_add_f32 v9, v9, v60
	v_add_f32_e32 v17, v21, v58
	ds_store_2addr_b64 v224, v[8:9], v[16:17] offset0:96 offset1:177
	ds_store_2addr_b64 v206, v[10:11], v[18:19] offset0:110 offset1:191
	scratch_load_b32 v19, off, off offset:324 ; 4-byte Folded Reload
	v_dual_add_f32 v11, v44, v46 :: v_dual_add_f32 v10, v59, v45
	v_dual_add_f32 v8, v29, v59 :: v_dual_add_f32 v9, v30, v44
	v_sub_f32_e32 v18, v59, v45
	s_delay_alu instid0(VALU_DEP_3) | instskip(NEXT) | instid1(VALU_DEP_4)
	v_fma_f32 v11, -0.5, v11, v30
	v_fma_f32 v10, -0.5, v10, v29
	s_delay_alu instid0(VALU_DEP_4) | instskip(NEXT) | instid1(VALU_DEP_3)
	v_dual_add_f32 v8, v8, v45 :: v_dual_add_f32 v9, v9, v46
	v_fmamk_f32 v17, v18, 0x3f5db3d7, v11
	s_delay_alu instid0(VALU_DEP_3)
	v_fmamk_f32 v16, v14, 0xbf5db3d7, v10
	v_fmac_f32_e32 v10, 0x3f5db3d7, v14
	v_dual_fmac_f32 v11, 0xbf5db3d7, v18 :: v_dual_sub_f32 v14, v47, v12
	s_waitcnt vmcnt(0)
	ds_store_b64 v19, v[8:9]
	v_add_f32_e32 v8, v0, v3
	v_add_f32_e32 v9, v32, v47
	ds_store_b64 v19, v[16:17] offset:2160
	ds_store_b64 v19, v[10:11] offset:4320
	v_add_f32_e32 v10, v31, v0
	v_sub_f32_e32 v0, v0, v3
	v_fma_f32 v31, -0.5, v8, v31
	v_add_f32_e32 v8, v47, v12
	v_add_f32_e32 v9, v9, v12
	scratch_load_b32 v12, off, off offset:344 ; 4-byte Folded Reload
	v_fmac_f32_e32 v32, -0.5, v8
	v_add_f32_e32 v8, v10, v3
	v_fmamk_f32 v10, v14, 0xbf5db3d7, v31
	v_fmac_f32_e32 v31, 0x3f5db3d7, v14
	v_add_f32_e32 v3, v34, v5
	v_fmamk_f32 v11, v0, 0x3f5db3d7, v32
	v_fmac_f32_e32 v32, 0xbf5db3d7, v0
	v_add_f32_e32 v0, v33, v1
	s_waitcnt vmcnt(0)
	ds_store_b64 v12, v[8:9] offset:12960
	ds_store_b64 v12, v[31:32] offset:17280
	;; [unrolled: 1-line block ×3, first 2 shown]
	scratch_load_b32 v10, off, off offset:364 ; 4-byte Folded Reload
	v_dual_add_f32 v8, v0, v4 :: v_dual_add_f32 v9, v3, v13
	v_add_f32_e32 v0, v5, v13
	v_sub_f32_e32 v3, v5, v13
	v_add_f32_e32 v5, v1, v4
	v_sub_f32_e32 v4, v1, v4
	s_waitcnt vmcnt(0)
	ds_store_b64 v10, v[8:9] offset:12960
	v_fma_f32 v8, -0.5, v5, v33
	v_add_f32_e32 v5, v2, v6
	v_fma_f32 v9, -0.5, v0, v34
	s_delay_alu instid0(VALU_DEP_3) | instskip(SKIP_1) | instid1(VALU_DEP_4)
	v_fmamk_f32 v0, v3, 0xbf5db3d7, v8
	v_dual_fmac_f32 v8, 0x3f5db3d7, v3 :: v_dual_add_f32 v3, v35, v2
	v_fma_f32 v35, -0.5, v5, v35
	v_add_f32_e32 v5, v7, v15
	v_fmamk_f32 v1, v4, 0x3f5db3d7, v9
	v_dual_fmac_f32 v9, 0xbf5db3d7, v4 :: v_dual_add_f32 v4, v36, v7
	v_sub_f32_e32 v2, v2, v6
	s_delay_alu instid0(VALU_DEP_4) | instskip(SKIP_1) | instid1(VALU_DEP_4)
	v_dual_fmac_f32 v36, -0.5, v5 :: v_dual_add_f32 v3, v3, v6
	v_sub_f32_e32 v7, v7, v15
	v_add_f32_e32 v4, v4, v15
	ds_store_b64 v10, v[8:9] offset:17280
	v_fmamk_f32 v6, v2, 0x3f5db3d7, v36
	v_fmac_f32_e32 v36, 0xbf5db3d7, v2
	scratch_load_b32 v2, off, off offset:340 ; 4-byte Folded Reload
	v_fmamk_f32 v5, v7, 0xbf5db3d7, v35
	v_fmac_f32_e32 v35, 0x3f5db3d7, v7
	s_waitcnt vmcnt(0)
	ds_store_b64 v2, v[35:36] offset:17280
	ds_store_b64 v10, v[0:1] offset:15120
	ds_store_b64 v2, v[3:4] offset:12960
	ds_store_b64 v2, v[5:6] offset:15120
	s_waitcnt lgkmcnt(0)
	s_barrier
	buffer_gl0_inv
	scratch_load_b128 v[6:9], off, off offset:372 ; 16-byte Folded Reload
	ds_load_2addr_b64 v[0:3], v224 offset0:42 offset1:123
	s_waitcnt vmcnt(0) lgkmcnt(0)
	v_mul_f32_e32 v12, v7, v1
	s_delay_alu instid0(VALU_DEP_1) | instskip(SKIP_1) | instid1(VALU_DEP_1)
	v_fmac_f32_e32 v12, v6, v0
	v_mul_f32_e32 v0, v7, v0
	v_fma_f32 v13, v6, v1, -v0
	ds_load_2addr_b64 v[4:7], v201 offset0:84 offset1:165
	s_waitcnt lgkmcnt(0)
	v_mul_f32_e32 v14, v9, v5
	v_mul_f32_e32 v0, v9, v4
	s_delay_alu instid0(VALU_DEP_2) | instskip(NEXT) | instid1(VALU_DEP_2)
	v_fmac_f32_e32 v14, v8, v4
	v_fma_f32 v15, v8, v5, -v0
	scratch_load_b128 v[8:11], off, off offset:348 ; 16-byte Folded Reload
	s_waitcnt vmcnt(0)
	v_mul_f32_e32 v0, v9, v2
	v_mul_f32_e32 v28, v9, v3
	;; [unrolled: 1-line block ×3, first 2 shown]
	s_delay_alu instid0(VALU_DEP_3) | instskip(SKIP_1) | instid1(VALU_DEP_4)
	v_fma_f32 v29, v8, v3, -v0
	v_mul_f32_e32 v0, v11, v6
	v_fmac_f32_e32 v28, v8, v2
	s_delay_alu instid0(VALU_DEP_4) | instskip(NEXT) | instid1(VALU_DEP_3)
	v_fmac_f32_e32 v30, v10, v6
	v_fma_f32 v31, v10, v7, -v0
	ds_load_2addr_b64 v[0:3], v203 offset0:76 offset1:157
	ds_load_2addr_b64 v[4:7], v210 offset0:118 offset1:199
	s_waitcnt lgkmcnt(1)
	v_mul_f32_e32 v32, v101, v1
	s_waitcnt lgkmcnt(0)
	v_mul_f32_e32 v34, v103, v5
	v_mul_f32_e32 v36, v97, v3
	;; [unrolled: 1-line block ×3, first 2 shown]
	v_fmac_f32_e32 v32, v100, v0
	v_mul_f32_e32 v0, v101, v0
	v_fmac_f32_e32 v34, v102, v4
	v_fmac_f32_e32 v36, v96, v2
	;; [unrolled: 1-line block ×3, first 2 shown]
	s_delay_alu instid0(VALU_DEP_4) | instskip(SKIP_1) | instid1(VALU_DEP_1)
	v_fma_f32 v33, v100, v1, -v0
	v_mul_f32_e32 v0, v103, v4
	v_fma_f32 v35, v102, v5, -v0
	v_mul_f32_e32 v0, v97, v2
	s_delay_alu instid0(VALU_DEP_1)
	v_fma_f32 v37, v96, v3, -v0
	v_mul_f32_e32 v0, v99, v6
	ds_load_2addr_b64 v[2:5], v206 offset0:110 offset1:191
	v_fma_f32 v39, v98, v7, -v0
	ds_load_2addr_b64 v[6:9], v202 offset0:152 offset1:233
	s_waitcnt lgkmcnt(1)
	v_mul_f32_e32 v0, v121, v3
	v_mul_f32_e32 v1, v121, v2
	s_delay_alu instid0(VALU_DEP_2) | instskip(NEXT) | instid1(VALU_DEP_2)
	v_dual_mul_f32 v41, v105, v5 :: v_dual_fmac_f32 v0, v120, v2
	v_fma_f32 v2, v120, v3, -v1
	s_waitcnt lgkmcnt(0)
	v_mul_f32_e32 v1, v123, v6
	v_mul_f32_e32 v3, v123, v7
	v_fmac_f32_e32 v41, v104, v4
	v_mul_f32_e32 v43, v107, v9
	s_delay_alu instid0(VALU_DEP_4) | instskip(SKIP_2) | instid1(VALU_DEP_4)
	v_fma_f32 v40, v122, v7, -v1
	v_mul_f32_e32 v1, v105, v4
	v_fmac_f32_e32 v3, v122, v6
	v_fmac_f32_e32 v43, v106, v8
	s_delay_alu instid0(VALU_DEP_3)
	v_fma_f32 v42, v104, v5, -v1
	v_mul_f32_e32 v1, v107, v8
	ds_load_2addr_b64 v[4:7], v215 offset0:16 offset1:97
	v_fma_f32 v44, v106, v9, -v1
	ds_load_2addr_b64 v[8:11], v188 offset0:58 offset1:139
	s_waitcnt lgkmcnt(1)
	v_mul_f32_e32 v1, v125, v4
	v_mul_f32_e32 v45, v125, v5
	;; [unrolled: 1-line block ×3, first 2 shown]
	s_delay_alu instid0(VALU_DEP_3)
	v_fma_f32 v46, v124, v5, -v1
	s_waitcnt lgkmcnt(0)
	v_mul_f32_e32 v1, v127, v8
	v_fmac_f32_e32 v45, v124, v4
	v_dual_fmac_f32 v50, v112, v6 :: v_dual_mul_f32 v47, v127, v9
	v_mul_f32_e32 v52, v115, v11
	s_delay_alu instid0(VALU_DEP_4) | instskip(SKIP_1) | instid1(VALU_DEP_4)
	v_fma_f32 v49, v126, v9, -v1
	v_mul_f32_e32 v1, v113, v6
	v_fmac_f32_e32 v47, v126, v8
	s_delay_alu instid0(VALU_DEP_4) | instskip(NEXT) | instid1(VALU_DEP_3)
	v_fmac_f32_e32 v52, v114, v10
	v_fma_f32 v51, v112, v7, -v1
	ds_load_2addr_b64 v[4:7], v184 offset0:50 offset1:131
	v_mul_f32_e32 v1, v115, v10
	s_delay_alu instid0(VALU_DEP_1) | instskip(SKIP_4) | instid1(VALU_DEP_2)
	v_fma_f32 v53, v114, v11, -v1
	ds_load_2addr_b64 v[8:11], v214 offset0:92 offset1:173
	s_waitcnt lgkmcnt(1)
	v_mul_f32_e32 v1, v117, v5
	v_mul_f32_e32 v57, v109, v7
	v_fmac_f32_e32 v1, v116, v4
	s_delay_alu instid0(VALU_DEP_2) | instskip(SKIP_3) | instid1(VALU_DEP_3)
	v_dual_mul_f32 v4, v117, v4 :: v_dual_fmac_f32 v57, v108, v6
	s_waitcnt lgkmcnt(0)
	v_mul_f32_e32 v55, v119, v9
	v_mul_f32_e32 v59, v111, v11
	v_fma_f32 v54, v116, v5, -v4
	v_mul_f32_e32 v4, v119, v8
	s_delay_alu instid0(VALU_DEP_4) | instskip(NEXT) | instid1(VALU_DEP_4)
	v_fmac_f32_e32 v55, v118, v8
	v_fmac_f32_e32 v59, v110, v10
	s_delay_alu instid0(VALU_DEP_3) | instskip(SKIP_2) | instid1(VALU_DEP_2)
	v_fma_f32 v56, v118, v9, -v4
	v_mul_f32_e32 v4, v109, v6
	v_add_f32_e32 v9, v13, v15
	v_fma_f32 v58, v108, v7, -v4
	v_mul_f32_e32 v4, v111, v10
	v_sub_f32_e32 v10, v13, v15
	s_delay_alu instid0(VALU_DEP_2) | instskip(SKIP_4) | instid1(VALU_DEP_2)
	v_fma_f32 v60, v110, v11, -v4
	ds_load_2addr_b64 v[4:7], v48 offset1:81
	s_waitcnt lgkmcnt(0)
	v_add_f32_e32 v8, v5, v13
	v_fma_f32 v5, -0.5, v9, v5
	v_add_f32_e32 v25, v8, v15
	v_add_f32_e32 v8, v4, v12
	s_delay_alu instid0(VALU_DEP_1) | instskip(SKIP_1) | instid1(VALU_DEP_1)
	v_add_f32_e32 v24, v8, v14
	v_add_f32_e32 v8, v12, v14
	v_fma_f32 v4, -0.5, v8, v4
	v_sub_f32_e32 v8, v12, v14
	s_delay_alu instid0(VALU_DEP_2) | instskip(NEXT) | instid1(VALU_DEP_2)
	v_fmamk_f32 v26, v10, 0xbf5db3d7, v4
	v_dual_fmamk_f32 v27, v8, 0x3f5db3d7, v5 :: v_dual_fmac_f32 v4, 0x3f5db3d7, v10
	v_fmac_f32_e32 v5, 0xbf5db3d7, v8
	ds_load_2addr_b64 v[8:11], v48 offset0:162 offset1:243
	ds_load_2addr_b64 v[12:15], v211 offset0:68 offset1:149
	;; [unrolled: 1-line block ×4, first 2 shown]
	ds_store_b64 v48, v[26:27] offset:6480
	ds_store_b64 v48, v[4:5] offset:12960
	v_dual_add_f32 v4, v6, v28 :: v_dual_add_f32 v5, v7, v29
	s_delay_alu instid0(VALU_DEP_1) | instskip(NEXT) | instid1(VALU_DEP_2)
	v_dual_sub_f32 v27, v33, v35 :: v_dual_add_f32 v4, v4, v30
	v_add_f32_e32 v5, v5, v31
	ds_store_2addr_b64 v48, v[24:25], v[4:5] offset1:81
	v_dual_add_f32 v4, v28, v30 :: v_dual_sub_f32 v5, v29, v31
	v_dual_sub_f32 v24, v28, v30 :: v_dual_add_f32 v25, v33, v35
	v_sub_f32_e32 v28, v32, v34
	s_delay_alu instid0(VALU_DEP_3) | instskip(SKIP_3) | instid1(VALU_DEP_2)
	v_fma_f32 v6, -0.5, v4, v6
	v_add_f32_e32 v4, v29, v31
	s_waitcnt lgkmcnt(6)
	v_fma_f32 v25, -0.5, v25, v9
	v_dual_fmac_f32 v7, -0.5, v4 :: v_dual_fmamk_f32 v4, v5, 0xbf5db3d7, v6
	s_delay_alu instid0(VALU_DEP_1) | instskip(SKIP_1) | instid1(VALU_DEP_1)
	v_dual_fmac_f32 v6, 0x3f5db3d7, v5 :: v_dual_fmamk_f32 v5, v24, 0x3f5db3d7, v7
	v_dual_fmac_f32 v7, 0xbf5db3d7, v24 :: v_dual_add_f32 v24, v32, v34
	v_fma_f32 v24, -0.5, v24, v8
	s_delay_alu instid0(VALU_DEP_1)
	v_fmamk_f32 v26, v27, 0xbf5db3d7, v24
	v_dual_fmac_f32 v24, 0x3f5db3d7, v27 :: v_dual_fmamk_f32 v27, v28, 0x3f5db3d7, v25
	v_fmac_f32_e32 v25, 0xbf5db3d7, v28
	ds_store_2addr_b64 v201, v[6:7], v[24:25] offset0:165 offset1:246
	ds_store_2addr_b64 v224, v[4:5], v[26:27] offset0:123 offset1:204
	v_dual_add_f32 v4, v8, v32 :: v_dual_add_f32 v5, v9, v33
	v_dual_add_f32 v6, v10, v36 :: v_dual_add_f32 v7, v11, v37
	s_delay_alu instid0(VALU_DEP_2) | instskip(NEXT) | instid1(VALU_DEP_2)
	v_dual_sub_f32 v9, v2, v40 :: v_dual_add_f32 v4, v4, v34
	v_dual_add_f32 v5, v5, v35 :: v_dual_add_f32 v6, v6, v38
	s_delay_alu instid0(VALU_DEP_3)
	v_add_f32_e32 v7, v7, v39
	v_sub_f32_e32 v24, v0, v3
	v_dual_sub_f32 v25, v41, v43 :: v_dual_sub_f32 v26, v46, v49
	v_sub_f32_e32 v27, v45, v47
	ds_store_2addr_b64 v48, v[4:5], v[6:7] offset0:162 offset1:243
	v_dual_add_f32 v4, v36, v38 :: v_dual_sub_f32 v5, v37, v39
	v_dual_sub_f32 v6, v36, v38 :: v_dual_add_f32 v7, v2, v40
	v_add_nc_u32_e32 v28, 0x2400, v48
	s_delay_alu instid0(VALU_DEP_3) | instskip(SKIP_3) | instid1(VALU_DEP_2)
	v_fma_f32 v10, -0.5, v4, v10
	v_add_f32_e32 v4, v37, v39
	s_waitcnt lgkmcnt(8)
	v_fma_f32 v7, -0.5, v7, v13
	v_dual_fmac_f32 v11, -0.5, v4 :: v_dual_fmamk_f32 v4, v5, 0xbf5db3d7, v10
	s_delay_alu instid0(VALU_DEP_1) | instskip(SKIP_2) | instid1(VALU_DEP_2)
	v_dual_fmac_f32 v10, 0x3f5db3d7, v5 :: v_dual_fmamk_f32 v5, v6, 0x3f5db3d7, v11
	v_dual_fmac_f32 v11, 0xbf5db3d7, v6 :: v_dual_add_f32 v6, v0, v3
	v_add_f32_e32 v0, v12, v0
	v_fma_f32 v6, -0.5, v6, v12
	s_delay_alu instid0(VALU_DEP_1)
	v_fmamk_f32 v8, v9, 0xbf5db3d7, v6
	v_dual_fmac_f32 v6, 0x3f5db3d7, v9 :: v_dual_fmamk_f32 v9, v24, 0x3f5db3d7, v7
	v_fmac_f32_e32 v7, 0xbf5db3d7, v24
	ds_store_2addr_b64 v202, v[10:11], v[6:7] offset0:71 offset1:152
	ds_store_2addr_b64 v206, v[4:5], v[8:9] offset0:29 offset1:110
	v_add_f32_e32 v4, v41, v43
	v_dual_add_f32 v10, v14, v41 :: v_dual_add_f32 v11, v15, v42
	v_add_f32_e32 v5, v46, v49
	v_sub_f32_e32 v24, v42, v44
	s_delay_alu instid0(VALU_DEP_4) | instskip(SKIP_3) | instid1(VALU_DEP_2)
	v_fma_f32 v14, -0.5, v4, v14
	v_add_f32_e32 v4, v42, v44
	s_waitcnt lgkmcnt(9)
	v_fma_f32 v5, -0.5, v5, v17
	v_dual_fmamk_f32 v6, v24, 0xbf5db3d7, v14 :: v_dual_fmac_f32 v15, -0.5, v4
	s_delay_alu instid0(VALU_DEP_2) | instskip(SKIP_2) | instid1(VALU_DEP_4)
	v_dual_add_f32 v4, v45, v47 :: v_dual_fmamk_f32 v9, v27, 0x3f5db3d7, v5
	v_fmac_f32_e32 v14, 0x3f5db3d7, v24
	v_fmac_f32_e32 v5, 0xbf5db3d7, v27
	v_fmamk_f32 v7, v25, 0x3f5db3d7, v15
	s_delay_alu instid0(VALU_DEP_4) | instskip(NEXT) | instid1(VALU_DEP_1)
	v_fma_f32 v4, -0.5, v4, v16
	v_dual_fmac_f32 v15, 0xbf5db3d7, v25 :: v_dual_fmamk_f32 v8, v26, 0xbf5db3d7, v4
	v_fmac_f32_e32 v4, 0x3f5db3d7, v26
	ds_store_2addr_b64 v28, v[6:7], v[8:9] offset0:63 offset1:144
	v_add_nc_u32_e32 v6, 0x3c00, v48
	v_sub_f32_e32 v8, v1, v55
	ds_store_2addr_b64 v6, v[14:15], v[4:5] offset0:105 offset1:186
	v_add_f32_e32 v4, v13, v2
	v_dual_add_f32 v2, v0, v3 :: v_dual_add_f32 v5, v11, v44
	v_add_f32_e32 v0, v16, v45
	s_delay_alu instid0(VALU_DEP_3) | instskip(SKIP_4) | instid1(VALU_DEP_2)
	v_dual_add_f32 v3, v4, v40 :: v_dual_add_f32 v4, v10, v43
	ds_store_2addr_b64 v211, v[2:3], v[4:5] offset0:68 offset1:149
	v_add_f32_e32 v2, v0, v47
	v_add_f32_e32 v0, v18, v50
	;; [unrolled: 1-line block ×3, first 2 shown]
	v_dual_add_f32 v5, v19, v51 :: v_dual_add_f32 v4, v0, v52
	s_delay_alu instid0(VALU_DEP_2) | instskip(NEXT) | instid1(VALU_DEP_2)
	v_dual_add_f32 v0, v50, v52 :: v_dual_add_f32 v3, v3, v49
	v_add_f32_e32 v5, v5, v53
	s_delay_alu instid0(VALU_DEP_2)
	v_fma_f32 v18, -0.5, v0, v18
	v_add_f32_e32 v0, v51, v53
	ds_store_2addr_b64 v186, v[2:3], v[4:5] offset0:102 offset1:183
	v_sub_f32_e32 v3, v51, v53
	v_add_f32_e32 v5, v54, v56
	v_fmac_f32_e32 v19, -0.5, v0
	v_sub_f32_e32 v0, v50, v52
	s_delay_alu instid0(VALU_DEP_4)
	v_fmamk_f32 v2, v3, 0xbf5db3d7, v18
	v_fmac_f32_e32 v18, 0x3f5db3d7, v3
	s_waitcnt lgkmcnt(12)
	v_fma_f32 v5, -0.5, v5, v21
	v_fmamk_f32 v3, v0, 0x3f5db3d7, v19
	v_dual_fmac_f32 v19, 0xbf5db3d7, v0 :: v_dual_add_f32 v0, v1, v55
	s_delay_alu instid0(VALU_DEP_3) | instskip(SKIP_4) | instid1(VALU_DEP_1)
	v_fmamk_f32 v7, v8, 0x3f5db3d7, v5
	v_fmac_f32_e32 v5, 0xbf5db3d7, v8
	ds_store_b64 v48, v[18:19] offset:17496
	v_fma_f32 v4, -0.5, v0, v20
	v_sub_f32_e32 v0, v54, v56
	v_fmamk_f32 v6, v0, 0xbf5db3d7, v4
	v_fmac_f32_e32 v4, 0x3f5db3d7, v0
	v_add_f32_e32 v0, v57, v59
	ds_store_2addr_b64 v215, v[2:3], v[6:7] offset0:97 offset1:178
	v_add_f32_e32 v6, v22, v57
	v_fma_f32 v22, -0.5, v0, v22
	v_dual_add_f32 v0, v58, v60 :: v_dual_add_f32 v7, v23, v58
	s_delay_alu instid0(VALU_DEP_1) | instskip(SKIP_1) | instid1(VALU_DEP_1)
	v_fmac_f32_e32 v23, -0.5, v0
	v_sub_f32_e32 v0, v58, v60
	v_fmamk_f32 v2, v0, 0xbf5db3d7, v22
	v_fmac_f32_e32 v22, 0x3f5db3d7, v0
	v_sub_f32_e32 v0, v57, v59
	s_delay_alu instid0(VALU_DEP_1)
	v_fmamk_f32 v3, v0, 0x3f5db3d7, v23
	v_dual_fmac_f32 v23, 0xbf5db3d7, v0 :: v_dual_add_f32 v0, v20, v1
	v_add_f32_e32 v1, v21, v54
	ds_store_2addr_b64 v214, v[4:5], v[22:23] offset0:92 offset1:173
	v_dual_add_f32 v0, v0, v55 :: v_dual_add_f32 v1, v1, v56
	v_dual_add_f32 v4, v6, v59 :: v_dual_add_f32 v5, v7, v60
	ds_store_2addr_b64 v189, v[0:1], v[4:5] offset0:136 offset1:217
	ds_store_b64 v48, v[2:3] offset:12312
	s_waitcnt lgkmcnt(0)
	s_barrier
	buffer_gl0_inv
	scratch_load_b64 v[5:6], off, off offset:240 ; 8-byte Folded Reload
	ds_load_2addr_b64 v[1:4], v48 offset1:81
	scratch_load_b64 v[9:10], off, off offset:200 ; 8-byte Folded Reload
	ds_load_2addr_b64 v[18:21], v184 offset0:50 offset1:131
	ds_load_2addr_b64 v[25:28], v202 offset0:152 offset1:233
	s_clause 0x2
	scratch_load_b64 v[13:14], off, off offset:160
	scratch_load_b64 v[29:30], off, off offset:56
	scratch_load_b32 v32, off, off offset:248
	s_waitcnt vmcnt(4) lgkmcnt(2)
	v_mul_f32_e32 v0, v6, v2
	s_delay_alu instid0(VALU_DEP_1) | instskip(SKIP_1) | instid1(VALU_DEP_1)
	v_fmac_f32_e32 v0, v5, v1
	v_mul_f32_e32 v1, v6, v1
	v_fma_f32 v1, v5, v2, -v1
	scratch_load_b64 v[5:6], off, off offset:224 ; 8-byte Folded Reload
	s_waitcnt vmcnt(0)
	v_mul_f32_e32 v2, v6, v4
	s_delay_alu instid0(VALU_DEP_1) | instskip(SKIP_1) | instid1(VALU_DEP_1)
	v_fmac_f32_e32 v2, v5, v3
	v_mul_f32_e32 v3, v6, v3
	v_fma_f32 v4, v5, v4, -v3
	ds_load_2addr_b64 v[5:8], v186 offset0:102 offset1:183
	s_waitcnt lgkmcnt(0)
	v_mul_f32_e32 v16, v10, v6
	v_mul_f32_e32 v3, v10, v5
	s_delay_alu instid0(VALU_DEP_2) | instskip(NEXT) | instid1(VALU_DEP_2)
	v_fmac_f32_e32 v16, v9, v5
	v_fma_f32 v17, v9, v6, -v3
	scratch_load_b64 v[9:10], off, off offset:232 ; 8-byte Folded Reload
	s_waitcnt vmcnt(0)
	v_mul_f32_e32 v3, v10, v8
	v_mul_f32_e32 v5, v10, v7
	scratch_load_b64 v[10:11], off, off offset:192 ; 8-byte Folded Reload
	v_fmac_f32_e32 v3, v9, v7
	v_fma_f32 v5, v9, v8, -v5
	ds_load_2addr_b64 v[6:9], v203 offset0:76 offset1:157
	s_waitcnt vmcnt(0) lgkmcnt(0)
	v_mul_f32_e32 v12, v11, v7
	s_delay_alu instid0(VALU_DEP_1) | instskip(SKIP_1) | instid1(VALU_DEP_1)
	v_fmac_f32_e32 v12, v10, v6
	v_mul_f32_e32 v6, v11, v6
	v_fma_f32 v15, v10, v7, -v6
	scratch_load_b64 v[10:11], off, off offset:216 ; 8-byte Folded Reload
	v_cvt_f64_f32_e32 v[39:40], v15
	s_waitcnt vmcnt(0)
	v_mul_f32_e32 v6, v11, v9
	v_mul_f32_e32 v7, v11, v8
	s_delay_alu instid0(VALU_DEP_2) | instskip(NEXT) | instid1(VALU_DEP_2)
	v_fmac_f32_e32 v6, v10, v8
	v_fma_f32 v9, v10, v9, -v7
	scratch_load_b64 v[10:11], off, off offset:168 ; 8-byte Folded Reload
	s_waitcnt vmcnt(0)
	v_mul_f32_e32 v23, v11, v19
	v_mul_f32_e32 v7, v11, v18
	s_delay_alu instid0(VALU_DEP_2) | instskip(NEXT) | instid1(VALU_DEP_2)
	v_fmac_f32_e32 v23, v10, v18
	v_fma_f32 v24, v10, v19, -v7
	s_clause 0x1
	scratch_load_b64 v[10:11], off, off offset:208
	scratch_load_b64 v[18:19], off, off offset:152
	s_waitcnt vmcnt(1)
	v_mul_f32_e32 v7, v11, v21
	v_mul_f32_e32 v8, v11, v20
	s_delay_alu instid0(VALU_DEP_2) | instskip(NEXT) | instid1(VALU_DEP_2)
	v_fmac_f32_e32 v7, v10, v20
	v_fma_f32 v8, v10, v21, -v8
	v_mul_f32_e32 v21, v14, v26
	v_mul_f32_e32 v10, v14, v25
	s_delay_alu instid0(VALU_DEP_2) | instskip(NEXT) | instid1(VALU_DEP_2)
	v_fmac_f32_e32 v21, v13, v25
	v_fma_f32 v22, v13, v26, -v10
	scratch_load_b64 v[13:14], off, off offset:184 ; 8-byte Folded Reload
	s_waitcnt vmcnt(0)
	v_mul_f32_e32 v11, v14, v28
	v_mul_f32_e32 v10, v14, v27
	s_delay_alu instid0(VALU_DEP_2) | instskip(NEXT) | instid1(VALU_DEP_2)
	v_fmac_f32_e32 v11, v13, v27
	v_fma_f32 v13, v13, v28, -v10
	ds_load_2addr_b64 v[25:28], v48 offset0:162 offset1:243
	s_waitcnt lgkmcnt(0)
	v_mul_f32_e32 v33, v19, v28
	v_mul_f32_e32 v10, v19, v27
	s_delay_alu instid0(VALU_DEP_2) | instskip(NEXT) | instid1(VALU_DEP_2)
	v_fmac_f32_e32 v33, v18, v27
	v_fma_f32 v35, v18, v28, -v10
	scratch_load_b64 v[18:19], off, off offset:176 ; 8-byte Folded Reload
	v_cvt_f64_f32_e32 v[33:34], v33
	v_cvt_f64_f32_e32 v[35:36], v35
	s_delay_alu instid0(VALU_DEP_2) | instskip(NEXT) | instid1(VALU_DEP_2)
	v_mul_f64 v[33:34], v[33:34], s[2:3]
	v_mul_f64 v[35:36], v[35:36], s[2:3]
	s_delay_alu instid0(VALU_DEP_2) | instskip(NEXT) | instid1(VALU_DEP_2)
	v_cvt_f32_f64_e32 v33, v[33:34]
	v_cvt_f32_f64_e32 v34, v[35:36]
	s_waitcnt vmcnt(0)
	v_mul_f32_e32 v10, v19, v26
	v_mul_f32_e32 v14, v19, v25
	scratch_load_b64 v[19:20], off, off offset:128 ; 8-byte Folded Reload
	v_fmac_f32_e32 v10, v18, v25
	v_fma_f32 v14, v18, v26, -v14
	ds_load_2addr_b64 v[25:28], v211 offset0:68 offset1:149
	s_waitcnt vmcnt(0) lgkmcnt(0)
	v_mul_f32_e32 v48, v20, v26
	v_mul_f32_e32 v18, v20, v25
	s_delay_alu instid0(VALU_DEP_2) | instskip(NEXT) | instid1(VALU_DEP_2)
	v_fmac_f32_e32 v48, v19, v25
	v_fma_f32 v49, v19, v26, -v18
	scratch_load_b64 v[25:26], off, off offset:136 ; 8-byte Folded Reload
	s_waitcnt vmcnt(0)
	v_mul_f32_e32 v19, v26, v28
	v_mul_f32_e32 v18, v26, v27
	s_delay_alu instid0(VALU_DEP_2) | instskip(NEXT) | instid1(VALU_DEP_2)
	v_fmac_f32_e32 v19, v25, v27
	v_fma_f32 v18, v25, v28, -v18
	ds_load_2addr_b64 v[25:28], v189 offset0:136 offset1:217
	s_waitcnt lgkmcnt(0)
	v_mul_f32_e32 v37, v30, v28
	v_mul_f32_e32 v20, v30, v27
	s_delay_alu instid0(VALU_DEP_2) | instskip(NEXT) | instid1(VALU_DEP_2)
	v_fmac_f32_e32 v37, v29, v27
	v_fma_f32 v38, v29, v28, -v20
	s_clause 0x1
	scratch_load_b64 v[27:28], off, off offset:144
	scratch_load_b64 v[29:30], off, off offset:96
	v_cvt_f64_f32_e32 v[35:36], v38
	s_waitcnt vmcnt(1)
	v_mul_f32_e32 v20, v28, v26
	s_delay_alu instid0(VALU_DEP_1) | instskip(SKIP_1) | instid1(VALU_DEP_1)
	v_fmac_f32_e32 v20, v27, v25
	v_mul_f32_e32 v25, v28, v25
	v_fma_f32 v54, v27, v26, -v25
	ds_load_2addr_b64 v[25:28], v224 offset0:42 offset1:123
	s_waitcnt vmcnt(0) lgkmcnt(0)
	v_mul_f32_e32 v50, v30, v26
	s_delay_alu instid0(VALU_DEP_1) | instskip(SKIP_1) | instid1(VALU_DEP_1)
	v_fmac_f32_e32 v50, v29, v25
	v_mul_f32_e32 v25, v30, v25
	v_fma_f32 v51, v29, v26, -v25
	scratch_load_b64 v[29:30], off, off offset:104 ; 8-byte Folded Reload
	s_waitcnt vmcnt(0)
	v_mul_f32_e32 v55, v30, v28
	v_mul_f32_e32 v25, v30, v27
	s_delay_alu instid0(VALU_DEP_2) | instskip(NEXT) | instid1(VALU_DEP_2)
	v_fmac_f32_e32 v55, v29, v27
	v_fma_f32 v56, v29, v28, -v25
	scratch_load_b64 v[29:30], off, off offset:24 ; 8-byte Folded Reload
	ds_load_2addr_b64 v[25:28], v206 offset0:110 offset1:191
	s_waitcnt vmcnt(0) lgkmcnt(0)
	v_mul_f32_e32 v41, v30, v28
	s_delay_alu instid0(VALU_DEP_1)
	v_fmac_f32_e32 v41, v29, v27
	v_mul_f32_e32 v27, v30, v27
	scratch_load_b64 v[30:31], off, off offset:120 ; 8-byte Folded Reload
	v_fma_f32 v42, v29, v28, -v27
	scratch_load_b64 v[27:28], off, off offset:112 ; 8-byte Folded Reload
	s_waitcnt vmcnt(0)
	v_mul_f32_e32 v57, v28, v26
	s_delay_alu instid0(VALU_DEP_1) | instskip(SKIP_1) | instid1(VALU_DEP_1)
	v_fmac_f32_e32 v57, v27, v25
	v_mul_f32_e32 v25, v28, v25
	v_fma_f32 v25, v27, v26, -v25
	ds_load_2addr_b64 v[26:29], v215 offset0:16 offset1:97
	s_waitcnt lgkmcnt(0)
	v_mul_f32_e32 v52, v31, v27
	s_delay_alu instid0(VALU_DEP_1) | instskip(SKIP_1) | instid1(VALU_DEP_1)
	v_fmac_f32_e32 v52, v30, v26
	v_mul_f32_e32 v26, v31, v26
	v_fma_f32 v53, v30, v27, -v26
	scratch_load_b64 v[30:31], off, off offset:88 ; 8-byte Folded Reload
	s_waitcnt vmcnt(0)
	v_mul_f32_e32 v58, v31, v29
	v_mul_f32_e32 v26, v31, v28
	s_delay_alu instid0(VALU_DEP_2) | instskip(NEXT) | instid1(VALU_DEP_2)
	v_fmac_f32_e32 v58, v30, v28
	v_fma_f32 v59, v30, v29, -v26
	scratch_load_b64 v[30:31], off, off offset:16 ; 8-byte Folded Reload
	ds_load_2addr_b64 v[26:29], v201 offset0:84 offset1:165
	s_waitcnt vmcnt(0) lgkmcnt(0)
	v_mul_f32_e32 v43, v31, v29
	s_delay_alu instid0(VALU_DEP_1) | instskip(SKIP_1) | instid1(VALU_DEP_1)
	v_fmac_f32_e32 v43, v30, v28
	v_mul_f32_e32 v28, v31, v28
	v_fma_f32 v44, v30, v29, -v28
	s_clause 0x1
	scratch_load_b64 v[28:29], off, off offset:64
	scratch_load_b64 v[30:31], off, off offset:72
	s_waitcnt vmcnt(1)
	v_mul_f32_e32 v60, v29, v27
	s_delay_alu instid0(VALU_DEP_1) | instskip(SKIP_1) | instid1(VALU_DEP_1)
	v_fmac_f32_e32 v60, v28, v26
	v_mul_f32_e32 v26, v29, v26
	v_fma_f32 v61, v28, v27, -v26
	ds_load_2addr_b64 v[26:29], v210 offset0:118 offset1:199
	s_waitcnt vmcnt(0) lgkmcnt(0)
	v_mul_f32_e32 v62, v31, v27
	s_delay_alu instid0(VALU_DEP_1) | instskip(SKIP_1) | instid1(VALU_DEP_1)
	v_fmac_f32_e32 v62, v30, v26
	v_mul_f32_e32 v26, v31, v26
	v_fma_f32 v63, v30, v27, -v26
	scratch_load_b64 v[26:27], off, off offset:80 ; 8-byte Folded Reload
	s_waitcnt vmcnt(0)
	v_mul_f32_e32 v64, v27, v29
	v_dual_mov_b32 v31, v27 :: v_dual_mov_b32 v30, v26
	s_delay_alu instid0(VALU_DEP_2) | instskip(NEXT) | instid1(VALU_DEP_2)
	v_fmac_f32_e32 v64, v26, v28
	v_mul_f32_e32 v26, v31, v28
	s_delay_alu instid0(VALU_DEP_1) | instskip(SKIP_4) | instid1(VALU_DEP_1)
	v_fma_f32 v65, v30, v29, -v26
	scratch_load_b64 v[30:31], off, off offset:8 ; 8-byte Folded Reload
	ds_load_2addr_b64 v[26:29], v188 offset0:58 offset1:139
	s_waitcnt vmcnt(0) lgkmcnt(0)
	v_mul_f32_e32 v45, v31, v29
	v_fmac_f32_e32 v45, v30, v28
	v_mul_f32_e32 v28, v31, v28
	s_delay_alu instid0(VALU_DEP_1)
	v_fma_f32 v46, v30, v29, -v28
	s_clause 0x1
	scratch_load_b64 v[28:29], off, off offset:32
	scratch_load_b64 v[30:31], off, off offset:40
	s_waitcnt vmcnt(1)
	v_mul_f32_e32 v66, v29, v27
	s_delay_alu instid0(VALU_DEP_1) | instskip(SKIP_1) | instid1(VALU_DEP_1)
	v_fmac_f32_e32 v66, v28, v26
	v_mul_f32_e32 v26, v29, v26
	v_fma_f32 v67, v28, v27, -v26
	ds_load_2addr_b64 v[26:29], v214 offset0:92 offset1:173
	s_waitcnt vmcnt(0) lgkmcnt(0)
	v_mul_f32_e32 v68, v31, v27
	s_delay_alu instid0(VALU_DEP_1) | instskip(SKIP_1) | instid1(VALU_DEP_1)
	v_fmac_f32_e32 v68, v30, v26
	v_mul_f32_e32 v26, v31, v26
	v_fma_f32 v69, v30, v27, -v26
	scratch_load_b64 v[30:31], off, off offset:48 ; 8-byte Folded Reload
	s_waitcnt vmcnt(0)
	v_mul_f32_e32 v70, v31, v29
	v_mul_f32_e32 v26, v31, v28
	s_delay_alu instid0(VALU_DEP_2) | instskip(NEXT) | instid1(VALU_DEP_2)
	v_fmac_f32_e32 v70, v30, v28
	v_fma_f32 v71, v30, v29, -v26
	scratch_load_b64 v[30:31], off, off     ; 8-byte Folded Reload
	s_waitcnt vmcnt(0)
	v_mad_u64_u32 v[26:27], null, s6, v30, 0
	s_delay_alu instid0(VALU_DEP_1) | instskip(SKIP_1) | instid1(VALU_DEP_1)
	v_mad_u64_u32 v[28:29], null, s7, v30, v[27:28]
	v_mad_u64_u32 v[29:30], null, s4, v32, 0
	v_dual_mov_b32 v27, v28 :: v_dual_mov_b32 v28, v30
	s_delay_alu instid0(VALU_DEP_1) | instskip(NEXT) | instid1(VALU_DEP_2)
	v_lshlrev_b64 v[26:27], 3, v[26:27]
	v_mad_u64_u32 v[30:31], null, s5, v32, v[28:29]
	v_cvt_f64_f32_e32 v[31:32], v0
	v_cvt_f64_f32_e32 v[0:1], v1
	s_delay_alu instid0(VALU_DEP_4)
	v_add_co_u32 v26, vcc_lo, s0, v26
	v_add_co_ci_u32_e32 v27, vcc_lo, s1, v27, vcc_lo
	v_lshlrev_b64 v[28:29], 3, v[29:30]
	s_mul_i32 s0, s5, 0x798
	s_mul_hi_u32 s1, s4, 0x798
	s_mulk_i32 s5, 0xbe30
	s_add_i32 s0, s1, s0
	s_mul_i32 s1, s4, 0x798
	v_add_co_u32 v26, vcc_lo, v26, v28
	v_add_co_ci_u32_e32 v27, vcc_lo, v27, v29, vcc_lo
	v_cvt_f64_f32_e32 v[28:29], v37
	v_cvt_f64_f32_e32 v[37:38], v12
	s_sub_i32 s5, s5, s4
	v_mul_f64 v[31:32], v[31:32], s[2:3]
	v_mul_f64 v[0:1], v[0:1], s[2:3]
	s_delay_alu instid0(VALU_DEP_4) | instskip(NEXT) | instid1(VALU_DEP_3)
	v_mul_f64 v[28:29], v[28:29], s[2:3]
	v_cvt_f32_f64_e32 v31, v[31:32]
	s_delay_alu instid0(VALU_DEP_3)
	v_cvt_f32_f64_e32 v32, v[0:1]
	v_cvt_f64_f32_e32 v[0:1], v16
	v_cvt_f64_f32_e32 v[16:17], v17
	v_cvt_f32_f64_e32 v28, v[28:29]
	global_store_b64 v[26:27], v[31:32], off
	v_mul_f64 v[0:1], v[0:1], s[2:3]
	v_mul_f64 v[16:17], v[16:17], s[2:3]
	v_add_co_u32 v26, vcc_lo, v26, s1
	v_add_co_ci_u32_e32 v27, vcc_lo, s0, v27, vcc_lo
	v_cvt_f64_f32_e32 v[30:31], v42
	global_store_b64 v[26:27], v[33:34], off
	v_cvt_f64_f32_e32 v[32:33], v43
	v_cvt_f64_f32_e32 v[43:44], v44
	v_mul_f64 v[34:35], v[35:36], s[2:3]
	v_mul_f64 v[36:37], v[37:38], s[2:3]
	;; [unrolled: 1-line block ×3, first 2 shown]
	v_add_co_u32 v26, vcc_lo, v26, s1
	v_add_co_ci_u32_e32 v27, vcc_lo, s0, v27, vcc_lo
	v_cvt_f32_f64_e32 v0, v[0:1]
	v_cvt_f32_f64_e32 v1, v[16:17]
	v_cvt_f64_f32_e32 v[15:16], v41
	v_cvt_f64_f32_e32 v[41:42], v23
	;; [unrolled: 1-line block ×4, first 2 shown]
	v_mul_f64 v[30:31], v[30:31], s[2:3]
	v_mul_f64 v[32:33], v[32:33], s[2:3]
	v_cvt_f32_f64_e32 v29, v[34:35]
	v_cvt_f64_f32_e32 v[34:35], v21
	v_cvt_f64_f32_e32 v[21:22], v22
	global_store_b64 v[26:27], v[0:1], off
	v_mul_f64 v[15:16], v[15:16], s[2:3]
	v_mul_f64 v[40:41], v[41:42], s[2:3]
	;; [unrolled: 1-line block ×4, first 2 shown]
	v_add_co_u32 v0, vcc_lo, v26, s1
	v_add_co_ci_u32_e32 v1, vcc_lo, s0, v27, vcc_lo
	v_cvt_f32_f64_e32 v26, v[36:37]
	v_cvt_f32_f64_e32 v27, v[38:39]
	v_cvt_f64_f32_e32 v[36:37], v45
	v_cvt_f64_f32_e32 v[38:39], v46
	;; [unrolled: 1-line block ×6, first 2 shown]
	v_cvt_f32_f64_e32 v32, v[32:33]
	v_mul_f64 v[34:35], v[34:35], s[2:3]
	v_mul_f64 v[21:22], v[21:22], s[2:3]
	global_store_b64 v[0:1], v[28:29], off
	v_add_co_u32 v0, vcc_lo, v0, s1
	v_add_co_ci_u32_e32 v1, vcc_lo, s0, v1, vcc_lo
	v_mul_f64 v[17:18], v[17:18], s[2:3]
	v_cvt_f32_f64_e32 v15, v[15:16]
	v_cvt_f32_f64_e32 v16, v[30:31]
	;; [unrolled: 1-line block ×4, first 2 shown]
	v_cvt_f64_f32_e32 v[23:24], v48
	v_cvt_f64_f32_e32 v[40:41], v49
	v_cvt_f32_f64_e32 v33, v[42:43]
	v_cvt_f64_f32_e32 v[42:43], v50
	v_cvt_f64_f32_e32 v[48:49], v51
	global_store_b64 v[0:1], v[26:27], off
	v_mul_f64 v[36:37], v[36:37], s[2:3]
	v_mul_f64 v[38:39], v[38:39], s[2:3]
	;; [unrolled: 1-line block ×6, first 2 shown]
	v_add_co_u32 v0, vcc_lo, v0, s1
	v_add_co_ci_u32_e32 v1, vcc_lo, s0, v1, vcc_lo
	s_delay_alu instid0(VALU_DEP_2) | instskip(NEXT) | instid1(VALU_DEP_2)
	v_add_co_u32 v50, vcc_lo, v0, s1
	v_add_co_ci_u32_e32 v51, vcc_lo, s0, v1, vcc_lo
	global_store_b64 v[0:1], v[15:16], off
	v_cvt_f32_f64_e32 v15, v[34:35]
	v_cvt_f32_f64_e32 v16, v[21:22]
	v_mul_f64 v[23:24], v[23:24], s[2:3]
	v_mul_f64 v[28:29], v[40:41], s[2:3]
	v_add_co_u32 v0, vcc_lo, v50, s1
	v_mul_f64 v[26:27], v[42:43], s[2:3]
	v_mul_f64 v[40:41], v[48:49], s[2:3]
	v_cvt_f64_f32_e32 v[42:43], v6
	v_cvt_f64_f32_e32 v[48:49], v9
	v_cvt_f32_f64_e32 v21, v[36:37]
	v_cvt_f32_f64_e32 v22, v[38:39]
	;; [unrolled: 1-line block ×4, first 2 shown]
	v_cvt_f64_f32_e32 v[36:37], v52
	v_cvt_f64_f32_e32 v[38:39], v53
	v_cvt_f64_f32_e32 v[6:7], v7
	v_cvt_f64_f32_e32 v[8:9], v8
	v_cvt_f64_f32_e32 v[44:45], v62
	v_cvt_f64_f32_e32 v[46:47], v63
	v_cvt_f32_f64_e32 v2, v[2:3]
	v_cvt_f32_f64_e32 v3, v[4:5]
	v_cvt_f64_f32_e32 v[4:5], v11
	v_cvt_f64_f32_e32 v[11:12], v13
	v_add_co_ci_u32_e32 v1, vcc_lo, s0, v51, vcc_lo
	v_add_co_u32 v52, vcc_lo, v0, s1
	global_store_b64 v[50:51], v[30:31], off
	v_add_co_ci_u32_e32 v53, vcc_lo, s0, v1, vcc_lo
	global_store_b64 v[0:1], v[32:33], off
	v_cvt_f64_f32_e32 v[13:14], v14
	v_cvt_f64_f32_e32 v[50:51], v65
	global_store_b64 v[52:53], v[15:16], off
	v_cvt_f32_f64_e32 v23, v[23:24]
	v_cvt_f32_f64_e32 v24, v[28:29]
	v_add_co_u32 v28, vcc_lo, v52, s1
	v_cvt_f32_f64_e32 v26, v[26:27]
	v_cvt_f32_f64_e32 v27, v[40:41]
	v_add_co_ci_u32_e32 v29, vcc_lo, s0, v53, vcc_lo
	v_mul_f64 v[40:41], v[42:43], s[2:3]
	v_mul_f64 v[42:43], v[48:49], s[2:3]
	v_cvt_f64_f32_e32 v[52:53], v66
	s_delay_alu instid0(VALU_DEP_4)
	v_mad_u64_u32 v[48:49], null, 0xffffbe30, s4, v[28:29]
	v_mul_f64 v[15:16], v[36:37], s[2:3]
	v_mul_f64 v[30:31], v[38:39], s[2:3]
	;; [unrolled: 1-line block ×6, first 2 shown]
	v_add_nc_u32_e32 v49, s5, v49
	v_add_co_u32 v0, vcc_lo, v48, s1
	v_mul_f64 v[4:5], v[4:5], s[2:3]
	v_mul_f64 v[11:12], v[11:12], s[2:3]
	s_delay_alu instid0(VALU_DEP_4) | instskip(NEXT) | instid1(VALU_DEP_4)
	v_add_co_ci_u32_e32 v1, vcc_lo, s0, v49, vcc_lo
	v_add_co_u32 v38, vcc_lo, v0, s1
	global_store_b64 v[28:29], v[21:22], off
	v_add_co_ci_u32_e32 v39, vcc_lo, s0, v1, vcc_lo
	v_add_co_u32 v21, vcc_lo, v38, s1
	v_cvt_f64_f32_e32 v[28:29], v19
	s_delay_alu instid0(VALU_DEP_3)
	v_add_co_ci_u32_e32 v22, vcc_lo, s0, v39, vcc_lo
	global_store_b64 v[48:49], v[34:35], off
	global_store_b64 v[0:1], v[23:24], off
	;; [unrolled: 1-line block ×4, first 2 shown]
	v_cvt_f64_f32_e32 v[2:3], v68
	v_cvt_f64_f32_e32 v[23:24], v69
	;; [unrolled: 1-line block ×5, first 2 shown]
	v_cvt_f32_f64_e32 v0, v[40:41]
	v_cvt_f32_f64_e32 v1, v[42:43]
	v_cvt_f64_f32_e32 v[38:39], v55
	v_cvt_f64_f32_e32 v[40:41], v56
	;; [unrolled: 1-line block ×4, first 2 shown]
	v_cvt_f32_f64_e32 v15, v[15:16]
	v_cvt_f32_f64_e32 v16, v[30:31]
	;; [unrolled: 1-line block ×4, first 2 shown]
	v_cvt_f64_f32_e32 v[8:9], v58
	v_cvt_f64_f32_e32 v[30:31], v59
	v_cvt_f32_f64_e32 v32, v[32:33]
	v_cvt_f32_f64_e32 v33, v[36:37]
	v_cvt_f64_f32_e32 v[36:37], v60
	v_cvt_f64_f32_e32 v[46:47], v61
	v_cvt_f32_f64_e32 v4, v[4:5]
	v_cvt_f32_f64_e32 v5, v[11:12]
	v_cvt_f64_f32_e32 v[10:11], v64
	v_cvt_f64_f32_e32 v[54:55], v67
	;; [unrolled: 1-line block ×4, first 2 shown]
	v_add_co_u32 v21, vcc_lo, v21, s1
	v_mul_f64 v[12:13], v[13:14], s[2:3]
	v_add_co_ci_u32_e32 v22, vcc_lo, s0, v22, vcc_lo
	s_delay_alu instid0(VALU_DEP_3) | instskip(NEXT) | instid1(VALU_DEP_2)
	v_add_co_u32 v48, vcc_lo, v21, s1
	v_add_co_ci_u32_e32 v49, vcc_lo, s0, v22, vcc_lo
	s_delay_alu instid0(VALU_DEP_2)
	v_add_co_u32 v60, vcc_lo, v48, s1
	v_mul_f64 v[2:3], v[2:3], s[2:3]
	v_mul_f64 v[23:24], v[23:24], s[2:3]
	;; [unrolled: 1-line block ×6, first 2 shown]
	v_add_co_ci_u32_e32 v61, vcc_lo, s0, v49, vcc_lo
	v_add_co_u32 v62, vcc_lo, v60, s1
	v_mul_f64 v[38:39], v[38:39], s[2:3]
	v_mul_f64 v[40:41], v[40:41], s[2:3]
	;; [unrolled: 1-line block ×4, first 2 shown]
	v_add_co_ci_u32_e32 v63, vcc_lo, s0, v61, vcc_lo
	v_mul_f64 v[8:9], v[8:9], s[2:3]
	v_mul_f64 v[29:30], v[30:31], s[2:3]
	global_store_b64 v[21:22], v[0:1], off
	global_store_b64 v[48:49], v[15:16], off
	;; [unrolled: 1-line block ×4, first 2 shown]
	v_mul_f64 v[0:1], v[36:37], s[2:3]
	v_mul_f64 v[6:7], v[46:47], s[2:3]
	;; [unrolled: 1-line block ×8, first 2 shown]
	v_add_co_u32 v14, vcc_lo, v62, s1
	v_add_co_ci_u32_e32 v15, vcc_lo, s0, v63, vcc_lo
	global_store_b64 v[14:15], v[4:5], off
	v_add_co_u32 v4, vcc_lo, v14, s1
	v_add_co_ci_u32_e32 v5, vcc_lo, s0, v15, vcc_lo
	v_cvt_f32_f64_e32 v2, v[2:3]
	v_cvt_f32_f64_e32 v3, v[23:24]
	v_cvt_f32_f64_e32 v14, v[25:26]
	v_cvt_f32_f64_e32 v15, v[12:13]
	v_cvt_f32_f64_e32 v12, v[27:28]
	v_cvt_f32_f64_e32 v13, v[17:18]
	v_mad_u64_u32 v[23:24], null, 0xffffbe30, s4, v[4:5]
	v_cvt_f32_f64_e32 v16, v[19:20]
	v_cvt_f32_f64_e32 v17, v[34:35]
	;; [unrolled: 1-line block ×6, first 2 shown]
	v_add_nc_u32_e32 v24, s5, v24
	v_add_co_u32 v27, vcc_lo, v23, s1
	v_cvt_f32_f64_e32 v8, v[8:9]
	v_cvt_f32_f64_e32 v9, v[29:30]
	s_delay_alu instid0(VALU_DEP_4) | instskip(SKIP_3) | instid1(VALU_DEP_4)
	v_add_co_ci_u32_e32 v28, vcc_lo, s0, v24, vcc_lo
	v_cvt_f32_f64_e32 v0, v[0:1]
	v_cvt_f32_f64_e32 v1, v[6:7]
	v_add_co_u32 v6, vcc_lo, v27, s1
	v_add_co_ci_u32_e32 v7, vcc_lo, s0, v28, vcc_lo
	v_cvt_f32_f64_e32 v10, v[10:11]
	v_cvt_f32_f64_e32 v11, v[21:22]
	;; [unrolled: 1-line block ×6, first 2 shown]
	v_add_co_u32 v31, vcc_lo, v6, s1
	v_add_co_ci_u32_e32 v32, vcc_lo, s0, v7, vcc_lo
	global_store_b64 v[4:5], v[2:3], off
	v_add_co_u32 v2, vcc_lo, v31, s1
	v_add_co_ci_u32_e32 v3, vcc_lo, s0, v32, vcc_lo
	global_store_b64 v[23:24], v[14:15], off
	;; [unrolled: 3-line block ×7, first 2 shown]
	global_store_b64 v[12:13], v[0:1], off
	global_store_b64 v[6:7], v[10:11], off
	global_store_b64 v[14:15], v[20:21], off
	global_store_b64 v[2:3], v[29:30], off
.LBB0_2:
	s_nop 0
	s_sendmsg sendmsg(MSG_DEALLOC_VGPRS)
	s_endpgm
	.section	.rodata,"a",@progbits
	.p2align	6, 0x0
	.amdhsa_kernel bluestein_single_back_len2430_dim1_sp_op_CI_CI
		.amdhsa_group_segment_fixed_size 19440
		.amdhsa_private_segment_fixed_size 552
		.amdhsa_kernarg_size 104
		.amdhsa_user_sgpr_count 15
		.amdhsa_user_sgpr_dispatch_ptr 0
		.amdhsa_user_sgpr_queue_ptr 0
		.amdhsa_user_sgpr_kernarg_segment_ptr 1
		.amdhsa_user_sgpr_dispatch_id 0
		.amdhsa_user_sgpr_private_segment_size 0
		.amdhsa_wavefront_size32 1
		.amdhsa_uses_dynamic_stack 0
		.amdhsa_enable_private_segment 1
		.amdhsa_system_sgpr_workgroup_id_x 1
		.amdhsa_system_sgpr_workgroup_id_y 0
		.amdhsa_system_sgpr_workgroup_id_z 0
		.amdhsa_system_sgpr_workgroup_info 0
		.amdhsa_system_vgpr_workitem_id 0
		.amdhsa_next_free_vgpr 256
		.amdhsa_next_free_sgpr 20
		.amdhsa_reserve_vcc 1
		.amdhsa_float_round_mode_32 0
		.amdhsa_float_round_mode_16_64 0
		.amdhsa_float_denorm_mode_32 3
		.amdhsa_float_denorm_mode_16_64 3
		.amdhsa_dx10_clamp 1
		.amdhsa_ieee_mode 1
		.amdhsa_fp16_overflow 0
		.amdhsa_workgroup_processor_mode 1
		.amdhsa_memory_ordered 1
		.amdhsa_forward_progress 0
		.amdhsa_shared_vgpr_count 0
		.amdhsa_exception_fp_ieee_invalid_op 0
		.amdhsa_exception_fp_denorm_src 0
		.amdhsa_exception_fp_ieee_div_zero 0
		.amdhsa_exception_fp_ieee_overflow 0
		.amdhsa_exception_fp_ieee_underflow 0
		.amdhsa_exception_fp_ieee_inexact 0
		.amdhsa_exception_int_div_zero 0
	.end_amdhsa_kernel
	.text
.Lfunc_end0:
	.size	bluestein_single_back_len2430_dim1_sp_op_CI_CI, .Lfunc_end0-bluestein_single_back_len2430_dim1_sp_op_CI_CI
                                        ; -- End function
	.section	.AMDGPU.csdata,"",@progbits
; Kernel info:
; codeLenInByte = 35636
; NumSgprs: 22
; NumVgprs: 256
; ScratchSize: 552
; MemoryBound: 0
; FloatMode: 240
; IeeeMode: 1
; LDSByteSize: 19440 bytes/workgroup (compile time only)
; SGPRBlocks: 2
; VGPRBlocks: 31
; NumSGPRsForWavesPerEU: 22
; NumVGPRsForWavesPerEU: 256
; Occupancy: 5
; WaveLimiterHint : 1
; COMPUTE_PGM_RSRC2:SCRATCH_EN: 1
; COMPUTE_PGM_RSRC2:USER_SGPR: 15
; COMPUTE_PGM_RSRC2:TRAP_HANDLER: 0
; COMPUTE_PGM_RSRC2:TGID_X_EN: 1
; COMPUTE_PGM_RSRC2:TGID_Y_EN: 0
; COMPUTE_PGM_RSRC2:TGID_Z_EN: 0
; COMPUTE_PGM_RSRC2:TIDIG_COMP_CNT: 0
	.text
	.p2alignl 7, 3214868480
	.fill 96, 4, 3214868480
	.type	__hip_cuid_f593765df650d648,@object ; @__hip_cuid_f593765df650d648
	.section	.bss,"aw",@nobits
	.globl	__hip_cuid_f593765df650d648
__hip_cuid_f593765df650d648:
	.byte	0                               ; 0x0
	.size	__hip_cuid_f593765df650d648, 1

	.ident	"AMD clang version 19.0.0git (https://github.com/RadeonOpenCompute/llvm-project roc-6.4.0 25133 c7fe45cf4b819c5991fe208aaa96edf142730f1d)"
	.section	".note.GNU-stack","",@progbits
	.addrsig
	.addrsig_sym __hip_cuid_f593765df650d648
	.amdgpu_metadata
---
amdhsa.kernels:
  - .args:
      - .actual_access:  read_only
        .address_space:  global
        .offset:         0
        .size:           8
        .value_kind:     global_buffer
      - .actual_access:  read_only
        .address_space:  global
        .offset:         8
        .size:           8
        .value_kind:     global_buffer
      - .actual_access:  read_only
        .address_space:  global
        .offset:         16
        .size:           8
        .value_kind:     global_buffer
      - .actual_access:  read_only
        .address_space:  global
        .offset:         24
        .size:           8
        .value_kind:     global_buffer
      - .actual_access:  read_only
        .address_space:  global
        .offset:         32
        .size:           8
        .value_kind:     global_buffer
      - .offset:         40
        .size:           8
        .value_kind:     by_value
      - .address_space:  global
        .offset:         48
        .size:           8
        .value_kind:     global_buffer
      - .address_space:  global
        .offset:         56
        .size:           8
        .value_kind:     global_buffer
      - .address_space:  global
        .offset:         64
        .size:           8
        .value_kind:     global_buffer
      - .address_space:  global
        .offset:         72
        .size:           8
        .value_kind:     global_buffer
      - .offset:         80
        .size:           4
        .value_kind:     by_value
      - .address_space:  global
        .offset:         88
        .size:           8
        .value_kind:     global_buffer
      - .address_space:  global
        .offset:         96
        .size:           8
        .value_kind:     global_buffer
    .group_segment_fixed_size: 19440
    .kernarg_segment_align: 8
    .kernarg_segment_size: 104
    .language:       OpenCL C
    .language_version:
      - 2
      - 0
    .max_flat_workgroup_size: 81
    .name:           bluestein_single_back_len2430_dim1_sp_op_CI_CI
    .private_segment_fixed_size: 552
    .sgpr_count:     22
    .sgpr_spill_count: 0
    .symbol:         bluestein_single_back_len2430_dim1_sp_op_CI_CI.kd
    .uniform_work_group_size: 1
    .uses_dynamic_stack: false
    .vgpr_count:     256
    .vgpr_spill_count: 137
    .wavefront_size: 32
    .workgroup_processor_mode: 1
amdhsa.target:   amdgcn-amd-amdhsa--gfx1100
amdhsa.version:
  - 1
  - 2
...

	.end_amdgpu_metadata
